;; amdgpu-corpus repo=ROCm/rocFFT kind=compiled arch=gfx1201 opt=O3
	.text
	.amdgcn_target "amdgcn-amd-amdhsa--gfx1201"
	.amdhsa_code_object_version 6
	.protected	fft_rtc_fwd_len1764_factors_2_2_3_3_7_7_wgs_126_tpt_126_halfLds_dp_ip_CI_unitstride_sbrr_R2C_dirReg ; -- Begin function fft_rtc_fwd_len1764_factors_2_2_3_3_7_7_wgs_126_tpt_126_halfLds_dp_ip_CI_unitstride_sbrr_R2C_dirReg
	.globl	fft_rtc_fwd_len1764_factors_2_2_3_3_7_7_wgs_126_tpt_126_halfLds_dp_ip_CI_unitstride_sbrr_R2C_dirReg
	.p2align	8
	.type	fft_rtc_fwd_len1764_factors_2_2_3_3_7_7_wgs_126_tpt_126_halfLds_dp_ip_CI_unitstride_sbrr_R2C_dirReg,@function
fft_rtc_fwd_len1764_factors_2_2_3_3_7_7_wgs_126_tpt_126_halfLds_dp_ip_CI_unitstride_sbrr_R2C_dirReg: ; @fft_rtc_fwd_len1764_factors_2_2_3_3_7_7_wgs_126_tpt_126_halfLds_dp_ip_CI_unitstride_sbrr_R2C_dirReg
; %bb.0:
	s_clause 0x2
	s_load_b128 s[4:7], s[0:1], 0x0
	s_load_b64 s[8:9], s[0:1], 0x50
	s_load_b64 s[10:11], s[0:1], 0x18
	v_mul_u32_u24_e32 v1, 0x209, v0
	v_mov_b32_e32 v3, 0
	s_delay_alu instid0(VALU_DEP_2) | instskip(NEXT) | instid1(VALU_DEP_1)
	v_lshrrev_b32_e32 v1, 16, v1
	v_add_nc_u32_e32 v5, ttmp9, v1
	v_mov_b32_e32 v1, 0
	v_mov_b32_e32 v2, 0
	;; [unrolled: 1-line block ×3, first 2 shown]
	s_wait_kmcnt 0x0
	v_cmp_lt_u64_e64 s2, s[6:7], 2
	s_delay_alu instid0(VALU_DEP_1)
	s_and_b32 vcc_lo, exec_lo, s2
	s_cbranch_vccnz .LBB0_8
; %bb.1:
	s_load_b64 s[2:3], s[0:1], 0x10
	v_mov_b32_e32 v1, 0
	v_mov_b32_e32 v2, 0
	s_add_nc_u64 s[12:13], s[10:11], 8
	s_mov_b64 s[14:15], 1
	s_wait_kmcnt 0x0
	s_add_nc_u64 s[16:17], s[2:3], 8
	s_mov_b32 s3, 0
.LBB0_2:                                ; =>This Inner Loop Header: Depth=1
	s_load_b64 s[18:19], s[16:17], 0x0
                                        ; implicit-def: $vgpr7_vgpr8
	s_mov_b32 s2, exec_lo
	s_wait_kmcnt 0x0
	v_or_b32_e32 v4, s19, v6
	s_delay_alu instid0(VALU_DEP_1)
	v_cmpx_ne_u64_e32 0, v[3:4]
	s_wait_alu 0xfffe
	s_xor_b32 s20, exec_lo, s2
	s_cbranch_execz .LBB0_4
; %bb.3:                                ;   in Loop: Header=BB0_2 Depth=1
	s_cvt_f32_u32 s2, s18
	s_cvt_f32_u32 s21, s19
	s_sub_nc_u64 s[24:25], 0, s[18:19]
	s_wait_alu 0xfffe
	s_delay_alu instid0(SALU_CYCLE_1) | instskip(SKIP_1) | instid1(SALU_CYCLE_2)
	s_fmamk_f32 s2, s21, 0x4f800000, s2
	s_wait_alu 0xfffe
	v_s_rcp_f32 s2, s2
	s_delay_alu instid0(TRANS32_DEP_1) | instskip(SKIP_1) | instid1(SALU_CYCLE_2)
	s_mul_f32 s2, s2, 0x5f7ffffc
	s_wait_alu 0xfffe
	s_mul_f32 s21, s2, 0x2f800000
	s_wait_alu 0xfffe
	s_delay_alu instid0(SALU_CYCLE_2) | instskip(SKIP_1) | instid1(SALU_CYCLE_2)
	s_trunc_f32 s21, s21
	s_wait_alu 0xfffe
	s_fmamk_f32 s2, s21, 0xcf800000, s2
	s_cvt_u32_f32 s23, s21
	s_wait_alu 0xfffe
	s_delay_alu instid0(SALU_CYCLE_1) | instskip(SKIP_1) | instid1(SALU_CYCLE_2)
	s_cvt_u32_f32 s22, s2
	s_wait_alu 0xfffe
	s_mul_u64 s[26:27], s[24:25], s[22:23]
	s_wait_alu 0xfffe
	s_mul_hi_u32 s29, s22, s27
	s_mul_i32 s28, s22, s27
	s_mul_hi_u32 s2, s22, s26
	s_mul_i32 s30, s23, s26
	s_wait_alu 0xfffe
	s_add_nc_u64 s[28:29], s[2:3], s[28:29]
	s_mul_hi_u32 s21, s23, s26
	s_mul_hi_u32 s31, s23, s27
	s_add_co_u32 s2, s28, s30
	s_wait_alu 0xfffe
	s_add_co_ci_u32 s2, s29, s21
	s_mul_i32 s26, s23, s27
	s_add_co_ci_u32 s27, s31, 0
	s_wait_alu 0xfffe
	s_add_nc_u64 s[26:27], s[2:3], s[26:27]
	s_wait_alu 0xfffe
	v_add_co_u32 v4, s2, s22, s26
	s_delay_alu instid0(VALU_DEP_1) | instskip(SKIP_1) | instid1(VALU_DEP_1)
	s_cmp_lg_u32 s2, 0
	s_add_co_ci_u32 s23, s23, s27
	v_readfirstlane_b32 s22, v4
	s_wait_alu 0xfffe
	s_delay_alu instid0(VALU_DEP_1)
	s_mul_u64 s[24:25], s[24:25], s[22:23]
	s_wait_alu 0xfffe
	s_mul_hi_u32 s27, s22, s25
	s_mul_i32 s26, s22, s25
	s_mul_hi_u32 s2, s22, s24
	s_mul_i32 s28, s23, s24
	s_wait_alu 0xfffe
	s_add_nc_u64 s[26:27], s[2:3], s[26:27]
	s_mul_hi_u32 s21, s23, s24
	s_mul_hi_u32 s22, s23, s25
	s_wait_alu 0xfffe
	s_add_co_u32 s2, s26, s28
	s_add_co_ci_u32 s2, s27, s21
	s_mul_i32 s24, s23, s25
	s_add_co_ci_u32 s25, s22, 0
	s_wait_alu 0xfffe
	s_add_nc_u64 s[24:25], s[2:3], s[24:25]
	s_wait_alu 0xfffe
	v_add_co_u32 v4, s2, v4, s24
	s_delay_alu instid0(VALU_DEP_1) | instskip(SKIP_1) | instid1(VALU_DEP_1)
	s_cmp_lg_u32 s2, 0
	s_add_co_ci_u32 s2, s23, s25
	v_mul_hi_u32 v13, v5, v4
	s_wait_alu 0xfffe
	v_mad_co_u64_u32 v[7:8], null, v5, s2, 0
	v_mad_co_u64_u32 v[9:10], null, v6, v4, 0
	;; [unrolled: 1-line block ×3, first 2 shown]
	s_delay_alu instid0(VALU_DEP_3) | instskip(SKIP_1) | instid1(VALU_DEP_4)
	v_add_co_u32 v4, vcc_lo, v13, v7
	s_wait_alu 0xfffd
	v_add_co_ci_u32_e32 v7, vcc_lo, 0, v8, vcc_lo
	s_delay_alu instid0(VALU_DEP_2) | instskip(SKIP_1) | instid1(VALU_DEP_2)
	v_add_co_u32 v4, vcc_lo, v4, v9
	s_wait_alu 0xfffd
	v_add_co_ci_u32_e32 v4, vcc_lo, v7, v10, vcc_lo
	s_wait_alu 0xfffd
	v_add_co_ci_u32_e32 v7, vcc_lo, 0, v12, vcc_lo
	s_delay_alu instid0(VALU_DEP_2) | instskip(SKIP_1) | instid1(VALU_DEP_2)
	v_add_co_u32 v4, vcc_lo, v4, v11
	s_wait_alu 0xfffd
	v_add_co_ci_u32_e32 v9, vcc_lo, 0, v7, vcc_lo
	s_delay_alu instid0(VALU_DEP_2) | instskip(SKIP_1) | instid1(VALU_DEP_3)
	v_mul_lo_u32 v10, s19, v4
	v_mad_co_u64_u32 v[7:8], null, s18, v4, 0
	v_mul_lo_u32 v11, s18, v9
	s_delay_alu instid0(VALU_DEP_2) | instskip(NEXT) | instid1(VALU_DEP_2)
	v_sub_co_u32 v7, vcc_lo, v5, v7
	v_add3_u32 v8, v8, v11, v10
	s_delay_alu instid0(VALU_DEP_1) | instskip(SKIP_1) | instid1(VALU_DEP_1)
	v_sub_nc_u32_e32 v10, v6, v8
	s_wait_alu 0xfffd
	v_subrev_co_ci_u32_e64 v10, s2, s19, v10, vcc_lo
	v_add_co_u32 v11, s2, v4, 2
	s_wait_alu 0xf1ff
	v_add_co_ci_u32_e64 v12, s2, 0, v9, s2
	v_sub_co_u32 v13, s2, v7, s18
	v_sub_co_ci_u32_e32 v8, vcc_lo, v6, v8, vcc_lo
	s_wait_alu 0xf1ff
	v_subrev_co_ci_u32_e64 v10, s2, 0, v10, s2
	s_delay_alu instid0(VALU_DEP_3) | instskip(NEXT) | instid1(VALU_DEP_3)
	v_cmp_le_u32_e32 vcc_lo, s18, v13
	v_cmp_eq_u32_e64 s2, s19, v8
	s_wait_alu 0xfffd
	v_cndmask_b32_e64 v13, 0, -1, vcc_lo
	v_cmp_le_u32_e32 vcc_lo, s19, v10
	s_wait_alu 0xfffd
	v_cndmask_b32_e64 v14, 0, -1, vcc_lo
	v_cmp_le_u32_e32 vcc_lo, s18, v7
	;; [unrolled: 3-line block ×3, first 2 shown]
	s_wait_alu 0xfffd
	v_cndmask_b32_e64 v15, 0, -1, vcc_lo
	v_cmp_eq_u32_e32 vcc_lo, s19, v10
	s_wait_alu 0xf1ff
	s_delay_alu instid0(VALU_DEP_2)
	v_cndmask_b32_e64 v7, v15, v7, s2
	s_wait_alu 0xfffd
	v_cndmask_b32_e32 v10, v14, v13, vcc_lo
	v_add_co_u32 v13, vcc_lo, v4, 1
	s_wait_alu 0xfffd
	v_add_co_ci_u32_e32 v14, vcc_lo, 0, v9, vcc_lo
	s_delay_alu instid0(VALU_DEP_3) | instskip(SKIP_2) | instid1(VALU_DEP_3)
	v_cmp_ne_u32_e32 vcc_lo, 0, v10
	s_wait_alu 0xfffd
	v_cndmask_b32_e32 v10, v13, v11, vcc_lo
	v_cndmask_b32_e32 v8, v14, v12, vcc_lo
	v_cmp_ne_u32_e32 vcc_lo, 0, v7
	s_wait_alu 0xfffd
	s_delay_alu instid0(VALU_DEP_2)
	v_dual_cndmask_b32 v7, v4, v10 :: v_dual_cndmask_b32 v8, v9, v8
.LBB0_4:                                ;   in Loop: Header=BB0_2 Depth=1
	s_wait_alu 0xfffe
	s_and_not1_saveexec_b32 s2, s20
	s_cbranch_execz .LBB0_6
; %bb.5:                                ;   in Loop: Header=BB0_2 Depth=1
	v_cvt_f32_u32_e32 v4, s18
	s_sub_co_i32 s20, 0, s18
	s_delay_alu instid0(VALU_DEP_1) | instskip(NEXT) | instid1(TRANS32_DEP_1)
	v_rcp_iflag_f32_e32 v4, v4
	v_mul_f32_e32 v4, 0x4f7ffffe, v4
	s_delay_alu instid0(VALU_DEP_1) | instskip(SKIP_1) | instid1(VALU_DEP_1)
	v_cvt_u32_f32_e32 v4, v4
	s_wait_alu 0xfffe
	v_mul_lo_u32 v7, s20, v4
	s_delay_alu instid0(VALU_DEP_1) | instskip(NEXT) | instid1(VALU_DEP_1)
	v_mul_hi_u32 v7, v4, v7
	v_add_nc_u32_e32 v4, v4, v7
	s_delay_alu instid0(VALU_DEP_1) | instskip(NEXT) | instid1(VALU_DEP_1)
	v_mul_hi_u32 v4, v5, v4
	v_mul_lo_u32 v7, v4, s18
	v_add_nc_u32_e32 v8, 1, v4
	s_delay_alu instid0(VALU_DEP_2) | instskip(NEXT) | instid1(VALU_DEP_1)
	v_sub_nc_u32_e32 v7, v5, v7
	v_subrev_nc_u32_e32 v9, s18, v7
	v_cmp_le_u32_e32 vcc_lo, s18, v7
	s_wait_alu 0xfffd
	s_delay_alu instid0(VALU_DEP_2) | instskip(NEXT) | instid1(VALU_DEP_1)
	v_dual_cndmask_b32 v7, v7, v9 :: v_dual_cndmask_b32 v4, v4, v8
	v_cmp_le_u32_e32 vcc_lo, s18, v7
	s_delay_alu instid0(VALU_DEP_2) | instskip(SKIP_1) | instid1(VALU_DEP_1)
	v_add_nc_u32_e32 v8, 1, v4
	s_wait_alu 0xfffd
	v_dual_cndmask_b32 v7, v4, v8 :: v_dual_mov_b32 v8, v3
.LBB0_6:                                ;   in Loop: Header=BB0_2 Depth=1
	s_wait_alu 0xfffe
	s_or_b32 exec_lo, exec_lo, s2
	s_load_b64 s[20:21], s[12:13], 0x0
	s_delay_alu instid0(VALU_DEP_1)
	v_mul_lo_u32 v4, v8, s18
	v_mul_lo_u32 v11, v7, s19
	v_mad_co_u64_u32 v[9:10], null, v7, s18, 0
	s_add_nc_u64 s[14:15], s[14:15], 1
	s_add_nc_u64 s[12:13], s[12:13], 8
	s_wait_alu 0xfffe
	v_cmp_ge_u64_e64 s2, s[14:15], s[6:7]
	s_add_nc_u64 s[16:17], s[16:17], 8
	s_delay_alu instid0(VALU_DEP_2) | instskip(NEXT) | instid1(VALU_DEP_3)
	v_add3_u32 v4, v10, v11, v4
	v_sub_co_u32 v5, vcc_lo, v5, v9
	s_wait_alu 0xfffd
	s_delay_alu instid0(VALU_DEP_2) | instskip(SKIP_3) | instid1(VALU_DEP_2)
	v_sub_co_ci_u32_e32 v4, vcc_lo, v6, v4, vcc_lo
	s_and_b32 vcc_lo, exec_lo, s2
	s_wait_kmcnt 0x0
	v_mul_lo_u32 v6, s21, v5
	v_mul_lo_u32 v4, s20, v4
	v_mad_co_u64_u32 v[1:2], null, s20, v5, v[1:2]
	s_delay_alu instid0(VALU_DEP_1)
	v_add3_u32 v2, v6, v2, v4
	s_wait_alu 0xfffe
	s_cbranch_vccnz .LBB0_9
; %bb.7:                                ;   in Loop: Header=BB0_2 Depth=1
	v_dual_mov_b32 v5, v7 :: v_dual_mov_b32 v6, v8
	s_branch .LBB0_2
.LBB0_8:
	v_dual_mov_b32 v8, v6 :: v_dual_mov_b32 v7, v5
.LBB0_9:
	s_lshl_b64 s[2:3], s[6:7], 3
	v_mul_hi_u32 v3, 0x2082083, v0
	s_wait_alu 0xfffe
	s_add_nc_u64 s[2:3], s[10:11], s[2:3]
	s_load_b64 s[0:1], s[0:1], 0x20
	s_load_b64 s[2:3], s[2:3], 0x0
	s_delay_alu instid0(VALU_DEP_1) | instskip(NEXT) | instid1(VALU_DEP_1)
	v_mul_u32_u24_e32 v3, 0x7e, v3
	v_sub_nc_u32_e32 v60, v0, v3
	s_delay_alu instid0(VALU_DEP_1)
	v_add_nc_u32_e32 v62, 0x7e, v60
	v_add_nc_u32_e32 v70, 0xfc, v60
	;; [unrolled: 1-line block ×4, first 2 shown]
	s_wait_kmcnt 0x0
	v_cmp_gt_u64_e32 vcc_lo, s[0:1], v[7:8]
	v_mul_lo_u32 v3, s2, v8
	v_mul_lo_u32 v4, s3, v7
	v_mad_co_u64_u32 v[0:1], null, s2, v7, v[1:2]
	v_cmp_le_u64_e64 s0, s[0:1], v[7:8]
	v_add_nc_u32_e32 v67, 0x276, v60
	v_add_nc_u32_e32 v66, 0x2f4, v60
	s_delay_alu instid0(VALU_DEP_4) | instskip(NEXT) | instid1(VALU_DEP_4)
	v_add3_u32 v1, v4, v1, v3
	s_and_saveexec_b32 s1, s0
	s_wait_alu 0xfffe
	s_xor_b32 s0, exec_lo, s1
; %bb.10:
	v_add_nc_u32_e32 v62, 0x7e, v60
	v_add_nc_u32_e32 v70, 0xfc, v60
	;; [unrolled: 1-line block ×6, first 2 shown]
; %bb.11:
	s_wait_alu 0xfffe
	s_or_saveexec_b32 s1, s0
	v_lshlrev_b64_e32 v[64:65], 4, v[0:1]
	s_wait_alu 0xfffe
	s_xor_b32 exec_lo, exec_lo, s1
	s_cbranch_execz .LBB0_13
; %bb.12:
	v_mov_b32_e32 v61, 0
	s_delay_alu instid0(VALU_DEP_2) | instskip(SKIP_2) | instid1(VALU_DEP_3)
	v_add_co_u32 v2, s0, s8, v64
	s_wait_alu 0xf1ff
	v_add_co_ci_u32_e64 v3, s0, s9, v65, s0
	v_lshlrev_b64_e32 v[0:1], 4, v[60:61]
	v_lshl_add_u32 v56, v60, 4, 0
	s_delay_alu instid0(VALU_DEP_2) | instskip(SKIP_1) | instid1(VALU_DEP_3)
	v_add_co_u32 v52, s0, v2, v0
	s_wait_alu 0xf1ff
	v_add_co_ci_u32_e64 v53, s0, v3, v1, s0
	s_clause 0xd
	global_load_b128 v[0:3], v[52:53], off
	global_load_b128 v[4:7], v[52:53], off offset:2016
	global_load_b128 v[8:11], v[52:53], off offset:4032
	;; [unrolled: 1-line block ×13, first 2 shown]
	s_wait_loadcnt 0xd
	ds_store_b128 v56, v[0:3]
	s_wait_loadcnt 0xc
	ds_store_b128 v56, v[4:7] offset:2016
	s_wait_loadcnt 0xb
	ds_store_b128 v56, v[8:11] offset:4032
	;; [unrolled: 2-line block ×13, first 2 shown]
.LBB0_13:
	s_or_b32 exec_lo, exec_lo, s1
	v_lshlrev_b32_e32 v61, 4, v60
	global_wb scope:SCOPE_SE
	s_wait_dscnt 0x0
	s_barrier_signal -1
	s_barrier_wait -1
	global_inv scope:SCOPE_SE
	v_add_nc_u32_e32 v72, 0, v61
	v_and_b32_e32 v74, 1, v60
	v_lshl_add_u32 v75, v62, 5, 0
	v_lshl_add_u32 v76, v70, 5, 0
	;; [unrolled: 1-line block ×3, first 2 shown]
	ds_load_b128 v[0:3], v72 offset:14112
	ds_load_b128 v[4:7], v72
	ds_load_b128 v[8:11], v72 offset:2016
	ds_load_b128 v[12:15], v72 offset:16128
	;; [unrolled: 1-line block ×12, first 2 shown]
	v_lshlrev_b32_e32 v56, 4, v74
	v_add_nc_u32_e32 v57, v72, v61
	v_lshl_add_u32 v84, v68, 5, 0
	v_lshl_add_u32 v73, v67, 5, 0
	v_lshl_add_u32 v71, v66, 5, 0
	global_wb scope:SCOPE_SE
	s_wait_dscnt 0x0
	s_barrier_signal -1
	v_add_f64_e64 v[0:1], v[4:5], -v[0:1]
	v_add_f64_e64 v[2:3], v[6:7], -v[2:3]
	;; [unrolled: 1-line block ×14, first 2 shown]
	s_barrier_wait -1
	global_inv scope:SCOPE_SE
	v_lshlrev_b32_e32 v81, 4, v62
	v_lshlrev_b32_e32 v80, 4, v70
	v_lshlrev_b32_e32 v77, 4, v69
	v_lshlrev_b32_e32 v63, 4, v67
	v_lshlrev_b32_e32 v78, 4, v66
	v_lshlrev_b32_e32 v87, 1, v68
	v_sub_nc_u32_e32 v85, v76, v80
	v_sub_nc_u32_e32 v86, v79, v77
	v_lshlrev_b32_e32 v88, 1, v67
	v_lshlrev_b32_e32 v89, 1, v66
	v_and_or_b32 v87, 0x7fc, v87, v74
	v_cmp_gt_u32_e64 s0, 0x54, v60
	s_delay_alu instid0(VALU_DEP_4) | instskip(NEXT) | instid1(VALU_DEP_3)
	v_and_or_b32 v88, 0x5fc, v88, v74
	v_lshl_add_u32 v87, v87, 4, 0
	s_delay_alu instid0(VALU_DEP_2)
	v_lshl_add_u32 v88, v88, 4, 0
	v_fma_f64 v[4:5], v[4:5], 2.0, -v[0:1]
	v_fma_f64 v[6:7], v[6:7], 2.0, -v[2:3]
	;; [unrolled: 1-line block ×14, first 2 shown]
	ds_store_b128 v57, v[4:7]
	ds_store_b128 v57, v[0:3] offset:16
	ds_store_b128 v75, v[8:11]
	ds_store_b128 v75, v[12:15] offset:16
	ds_store_b128 v76, v[20:23]
	ds_store_b128 v76, v[16:19] offset:16
	ds_store_b128 v79, v[24:27]
	ds_store_b128 v79, v[28:31] offset:16
	ds_store_b128 v84, v[36:39]
	ds_store_b128 v84, v[32:35] offset:16
	ds_store_b128 v73, v[40:43]
	ds_store_b128 v73, v[44:47] offset:16
	ds_store_b128 v71, v[48:51]
	ds_store_b128 v71, v[52:55] offset:16
	global_wb scope:SCOPE_SE
	s_wait_dscnt 0x0
	s_barrier_signal -1
	s_barrier_wait -1
	global_inv scope:SCOPE_SE
	global_load_b128 v[0:3], v56, s[4:5]
	ds_load_b128 v[4:7], v72 offset:14112
	ds_load_b128 v[8:11], v72 offset:16128
	ds_load_b128 v[12:15], v72 offset:18144
	ds_load_b128 v[16:19], v72 offset:20160
	ds_load_b128 v[20:23], v72 offset:22176
	ds_load_b128 v[24:27], v72 offset:24192
	ds_load_b128 v[28:31], v72 offset:26208
	ds_load_b128 v[32:35], v72
	s_wait_loadcnt_dscnt 0x7
	v_mul_f64_e32 v[36:37], v[6:7], v[2:3]
	v_mul_f64_e32 v[38:39], v[4:5], v[2:3]
	s_wait_dscnt 0x6
	v_mul_f64_e32 v[40:41], v[10:11], v[2:3]
	v_mul_f64_e32 v[42:43], v[8:9], v[2:3]
	s_wait_dscnt 0x5
	v_mul_f64_e32 v[44:45], v[14:15], v[2:3]
	v_mul_f64_e32 v[46:47], v[12:13], v[2:3]
	s_wait_dscnt 0x4
	v_mul_f64_e32 v[48:49], v[18:19], v[2:3]
	v_mul_f64_e32 v[50:51], v[16:17], v[2:3]
	s_wait_dscnt 0x3
	v_mul_f64_e32 v[52:53], v[22:23], v[2:3]
	v_mul_f64_e32 v[54:55], v[20:21], v[2:3]
	s_wait_dscnt 0x2
	v_mul_f64_e32 v[56:57], v[26:27], v[2:3]
	v_mul_f64_e32 v[58:59], v[24:25], v[2:3]
	s_wait_dscnt 0x1
	v_mul_f64_e32 v[82:83], v[30:31], v[2:3]
	v_mul_f64_e32 v[2:3], v[28:29], v[2:3]
	v_fma_f64 v[4:5], v[4:5], v[0:1], -v[36:37]
	v_fma_f64 v[6:7], v[6:7], v[0:1], v[38:39]
	v_fma_f64 v[36:37], v[8:9], v[0:1], -v[40:41]
	v_fma_f64 v[38:39], v[10:11], v[0:1], v[42:43]
	v_fma_f64 v[40:41], v[12:13], v[0:1], -v[44:45]
	v_fma_f64 v[42:43], v[14:15], v[0:1], v[46:47]
	v_fma_f64 v[44:45], v[16:17], v[0:1], -v[48:49]
	v_fma_f64 v[46:47], v[18:19], v[0:1], v[50:51]
	v_fma_f64 v[48:49], v[20:21], v[0:1], -v[52:53]
	v_fma_f64 v[50:51], v[22:23], v[0:1], v[54:55]
	v_fma_f64 v[52:53], v[24:25], v[0:1], -v[56:57]
	v_fma_f64 v[54:55], v[26:27], v[0:1], v[58:59]
	v_fma_f64 v[56:57], v[28:29], v[0:1], -v[82:83]
	v_fma_f64 v[58:59], v[30:31], v[0:1], v[2:3]
	v_sub_nc_u32_e32 v83, v75, v81
	v_lshlrev_b32_e32 v82, 4, v68
	ds_load_b128 v[8:11], v85
	v_sub_nc_u32_e32 v20, v73, v63
	ds_load_b128 v[12:15], v86
	ds_load_b128 v[0:3], v83
	v_sub_nc_u32_e32 v16, v84, v82
	v_sub_nc_u32_e32 v24, v71, v78
	ds_load_b128 v[16:19], v16
	ds_load_b128 v[20:23], v20
	;; [unrolled: 1-line block ×3, first 2 shown]
	global_wb scope:SCOPE_SE
	s_wait_dscnt 0x0
	s_barrier_signal -1
	s_barrier_wait -1
	global_inv scope:SCOPE_SE
	v_add_f64_e64 v[28:29], v[32:33], -v[4:5]
	v_add_f64_e64 v[30:31], v[34:35], -v[6:7]
	;; [unrolled: 1-line block ×14, first 2 shown]
	v_fma_f64 v[32:33], v[32:33], 2.0, -v[28:29]
	v_fma_f64 v[34:35], v[34:35], 2.0, -v[30:31]
	;; [unrolled: 1-line block ×14, first 2 shown]
	v_lshlrev_b32_e32 v24, 1, v60
	v_lshlrev_b32_e32 v25, 1, v62
	v_lshlrev_b32_e32 v26, 1, v70
	v_lshlrev_b32_e32 v27, 1, v69
	s_delay_alu instid0(VALU_DEP_4) | instskip(NEXT) | instid1(VALU_DEP_4)
	v_and_or_b32 v24, 0xfc, v24, v74
	v_and_or_b32 v25, 0x1fc, v25, v74
	s_delay_alu instid0(VALU_DEP_4) | instskip(NEXT) | instid1(VALU_DEP_4)
	v_and_or_b32 v26, 0x3fc, v26, v74
	v_and_or_b32 v27, 0x3fc, v27, v74
	;; [unrolled: 1-line block ×3, first 2 shown]
	v_lshl_add_u32 v24, v24, 4, 0
	v_lshl_add_u32 v25, v25, 4, 0
	;; [unrolled: 1-line block ×5, first 2 shown]
	ds_store_b128 v24, v[32:35]
	ds_store_b128 v24, v[28:31] offset:32
	ds_store_b128 v25, v[56:59]
	ds_store_b128 v25, v[36:39] offset:32
	;; [unrolled: 2-line block ×7, first 2 shown]
	global_wb scope:SCOPE_SE
	s_wait_dscnt 0x0
	s_barrier_signal -1
	s_barrier_wait -1
	global_inv scope:SCOPE_SE
	ds_load_b128 v[12:15], v72
	ds_load_b128 v[40:43], v72 offset:9408
	ds_load_b128 v[32:35], v72 offset:11424
	;; [unrolled: 1-line block ×5, first 2 shown]
	ds_load_b128 v[16:19], v85
	ds_load_b128 v[8:11], v86
	ds_load_b128 v[56:59], v72 offset:18816
	ds_load_b128 v[44:47], v72 offset:15456
	ds_load_b128 v[20:23], v83
	ds_load_b128 v[48:51], v72 offset:24864
	v_sub_nc_u32_e32 v24, 0, v82
                                        ; implicit-def: $vgpr26_vgpr27
	s_delay_alu instid0(VALU_DEP_1)
	v_add_nc_u32_e32 v74, v84, v24
	s_and_saveexec_b32 s1, s0
	s_cbranch_execz .LBB0_15
; %bb.14:
	ds_load_b128 v[0:3], v74
	ds_load_b128 v[4:7], v72 offset:17472
	ds_load_b128 v[24:27], v72 offset:26880
.LBB0_15:
	s_wait_alu 0xfffe
	s_or_b32 exec_lo, exec_lo, s1
	v_and_b32_e32 v82, 3, v60
	v_and_b32_e32 v135, 3, v62
	;; [unrolled: 1-line block ×3, first 2 shown]
	s_mov_b32 s2, 0xe8584caa
	s_mov_b32 s3, 0x3febb67a
	v_lshlrev_b32_e32 v87, 5, v82
	v_lshlrev_b32_e32 v95, 5, v135
	;; [unrolled: 1-line block ×3, first 2 shown]
	s_mov_b32 s7, 0xbfebb67a
	s_wait_alu 0xfffe
	s_mov_b32 s6, s2
	s_clause 0x5
	global_load_b128 v[83:86], v87, s[4:5] offset:32
	global_load_b128 v[87:90], v87, s[4:5] offset:48
	;; [unrolled: 1-line block ×6, first 2 shown]
	global_wb scope:SCOPE_SE
	s_wait_loadcnt_dscnt 0x0
	s_barrier_signal -1
	s_barrier_wait -1
	global_inv scope:SCOPE_SE
	v_mul_f64_e32 v[107:108], v[42:43], v[85:86]
	v_mul_f64_e32 v[109:110], v[58:59], v[89:90]
	;; [unrolled: 1-line block ×20, first 2 shown]
	v_fma_f64 v[40:41], v[40:41], v[83:84], -v[107:108]
	v_fma_f64 v[56:57], v[56:57], v[87:88], -v[109:110]
	v_fma_f64 v[42:43], v[42:43], v[83:84], v[111:112]
	v_fma_f64 v[58:59], v[58:59], v[87:88], v[113:114]
	v_fma_f64 v[32:33], v[32:33], v[91:92], -v[115:116]
	v_fma_f64 v[52:53], v[52:53], v[95:96], -v[117:118]
	v_fma_f64 v[34:35], v[34:35], v[91:92], v[93:94]
	v_fma_f64 v[28:29], v[28:29], v[83:84], -v[119:120]
	v_fma_f64 v[36:37], v[36:37], v[87:88], -v[121:122]
	v_fma_f64 v[30:31], v[30:31], v[83:84], v[123:124]
	v_fma_f64 v[38:39], v[38:39], v[87:88], v[125:126]
	v_fma_f64 v[44:45], v[44:45], v[99:100], -v[127:128]
	v_fma_f64 v[48:49], v[48:49], v[103:104], -v[129:130]
	v_fma_f64 v[46:47], v[46:47], v[99:100], v[101:102]
	;; [unrolled: 4-line block ×3, first 2 shown]
	v_fma_f64 v[83:84], v[26:27], v[87:88], v[89:90]
	v_fma_f64 v[54:55], v[54:55], v[95:96], v[97:98]
	v_add_f64_e32 v[103:104], v[12:13], v[40:41]
	v_add_f64_e32 v[24:25], v[40:41], v[56:57]
	;; [unrolled: 1-line block ×4, first 2 shown]
	v_add_f64_e64 v[42:43], v[42:43], -v[58:59]
	v_add_f64_e32 v[85:86], v[32:33], v[52:53]
	v_add_f64_e32 v[109:110], v[22:23], v[34:35]
	;; [unrolled: 1-line block ×15, first 2 shown]
	v_add_f64_e64 v[40:41], v[40:41], -v[56:57]
	v_add_f64_e64 v[127:128], v[34:35], -v[54:55]
	;; [unrolled: 1-line block ×4, first 2 shown]
	v_add_f64_e32 v[107:108], v[20:21], v[32:33]
	v_add_f64_e64 v[129:130], v[32:33], -v[52:53]
	v_add_f64_e64 v[131:132], v[30:31], -v[38:39]
	v_fma_f64 v[123:124], v[24:25], -0.5, v[12:13]
	v_add_f64_e32 v[12:13], v[103:104], v[56:57]
	v_fma_f64 v[125:126], v[26:27], -0.5, v[14:15]
	v_add_f64_e32 v[14:15], v[105:106], v[58:59]
	v_fma_f64 v[85:86], v[85:86], -0.5, v[20:21]
	v_lshrrev_b32_e32 v59, 2, v62
	v_fma_f64 v[16:17], v[89:90], -0.5, v[16:17]
	v_add_f64_e64 v[89:90], v[28:29], -v[36:37]
	v_fma_f64 v[93:94], v[93:94], -0.5, v[18:19]
	v_add_f64_e32 v[25:26], v[113:114], v[38:39]
	v_fma_f64 v[8:9], v[95:96], -0.5, v[8:9]
	v_add_f64_e64 v[95:96], v[44:45], -v[48:49]
	v_fma_f64 v[10:11], v[97:98], -0.5, v[10:11]
	v_add_f64_e32 v[27:28], v[115:116], v[48:49]
	v_fma_f64 v[97:98], v[99:100], -0.5, v[0:1]
	v_add_f64_e64 v[99:100], v[4:5], -v[91:92]
	v_fma_f64 v[101:102], v[101:102], -0.5, v[2:3]
	v_fma_f64 v[87:88], v[87:88], -0.5, v[22:23]
	v_add_f64_e32 v[21:22], v[109:110], v[54:55]
	v_add_f64_e32 v[23:24], v[111:112], v[36:37]
	v_add_f64_e32 v[0:1], v[119:120], v[91:92]
	v_add_f64_e32 v[2:3], v[121:122], v[83:84]
	v_add_f64_e32 v[19:20], v[107:108], v[52:53]
	v_add_f64_e32 v[29:30], v[117:118], v[50:51]
	v_lshrrev_b32_e32 v18, 2, v60
	v_mul_lo_u32 v59, v59, 12
	s_delay_alu instid0(VALU_DEP_1)
	v_or_b32_e32 v59, v59, v135
	v_fma_f64 v[31:32], v[42:43], s[2:3], v[123:124]
	s_wait_alu 0xfffe
	v_fma_f64 v[35:36], v[42:43], s[6:7], v[123:124]
	v_fma_f64 v[33:34], v[40:41], s[6:7], v[125:126]
	;; [unrolled: 1-line block ×5, first 2 shown]
	v_lshl_add_u32 v59, v59, 4, 0
	v_fma_f64 v[47:48], v[131:132], s[2:3], v[16:17]
	v_fma_f64 v[51:52], v[131:132], s[6:7], v[16:17]
	;; [unrolled: 1-line block ×14, first 2 shown]
	v_sub_nc_u32_e32 v16, 0, v81
	v_lshrrev_b32_e32 v81, 2, v70
	v_lshrrev_b32_e32 v87, 2, v69
	v_sub_nc_u32_e32 v17, 0, v80
	v_mul_u32_u24_e32 v80, 12, v18
	v_sub_nc_u32_e32 v18, 0, v77
	v_mul_lo_u32 v81, v81, 12
	v_mul_lo_u32 v87, v87, 12
	s_delay_alu instid0(VALU_DEP_4) | instskip(NEXT) | instid1(VALU_DEP_3)
	v_or_b32_e32 v77, v80, v82
	v_or_b32_e32 v80, v81, v82
	s_delay_alu instid0(VALU_DEP_3) | instskip(NEXT) | instid1(VALU_DEP_3)
	v_or_b32_e32 v81, v87, v136
	v_lshl_add_u32 v77, v77, 4, 0
	s_delay_alu instid0(VALU_DEP_3) | instskip(NEXT) | instid1(VALU_DEP_3)
	v_lshl_add_u32 v80, v80, 4, 0
	v_lshl_add_u32 v81, v81, 4, 0
	ds_store_b128 v77, v[12:15]
	ds_store_b128 v77, v[31:34] offset:64
	ds_store_b128 v77, v[35:38] offset:128
	ds_store_b128 v59, v[19:22]
	ds_store_b128 v59, v[39:42] offset:64
	ds_store_b128 v59, v[43:46] offset:128
	;; [unrolled: 3-line block ×4, first 2 shown]
	s_and_saveexec_b32 s1, s0
	s_cbranch_execz .LBB0_17
; %bb.16:
	v_lshrrev_b32_e32 v12, 2, v68
	s_delay_alu instid0(VALU_DEP_1) | instskip(NEXT) | instid1(VALU_DEP_1)
	v_mul_lo_u32 v12, v12, 12
	v_or_b32_e32 v12, v12, v82
	s_delay_alu instid0(VALU_DEP_1)
	v_lshl_add_u32 v12, v12, 4, 0
	ds_store_b128 v12, v[0:3]
	ds_store_b128 v12, v[4:7] offset:64
	ds_store_b128 v12, v[8:11] offset:128
.LBB0_17:
	s_wait_alu 0xfffe
	s_or_b32 exec_lo, exec_lo, s1
	v_add_nc_u32_e32 v76, v76, v17
	global_wb scope:SCOPE_SE
	s_wait_dscnt 0x0
	s_barrier_signal -1
	s_barrier_wait -1
	global_inv scope:SCOPE_SE
	ds_load_b128 v[12:15], v72
	ds_load_b128 v[28:31], v72 offset:9408
	v_add_nc_u32_e32 v77, v75, v16
	v_add_nc_u32_e32 v75, v79, v18
	ds_load_b128 v[44:47], v72 offset:11424
	ds_load_b128 v[32:35], v72 offset:13440
	;; [unrolled: 1-line block ×4, first 2 shown]
	ds_load_b128 v[20:23], v76
	ds_load_b128 v[16:19], v75
	ds_load_b128 v[56:59], v72 offset:18816
	ds_load_b128 v[40:43], v72 offset:15456
	ds_load_b128 v[24:27], v77
	ds_load_b128 v[48:51], v72 offset:24864
	s_and_saveexec_b32 s1, s0
	s_cbranch_execz .LBB0_19
; %bb.18:
	ds_load_b128 v[0:3], v74
	ds_load_b128 v[4:7], v72 offset:17472
	ds_load_b128 v[8:11], v72 offset:26880
.LBB0_19:
	s_wait_alu 0xfffe
	s_or_b32 exec_lo, exec_lo, s1
	v_and_b32_e32 v80, 0xff, v60
	v_and_b32_e32 v79, 0xff, v62
	;; [unrolled: 1-line block ×3, first 2 shown]
	s_mov_b32 s6, s2
	s_delay_alu instid0(VALU_DEP_3) | instskip(NEXT) | instid1(VALU_DEP_3)
	v_mul_lo_u16 v81, 0xab, v80
	v_mul_lo_u16 v83, 0xab, v79
	s_delay_alu instid0(VALU_DEP_3) | instskip(NEXT) | instid1(VALU_DEP_3)
	v_mul_u32_u24_e32 v82, 0xaaab, v82
	v_lshrrev_b16 v129, 11, v81
	v_and_b32_e32 v81, 0xffff, v69
	s_delay_alu instid0(VALU_DEP_4) | instskip(NEXT) | instid1(VALU_DEP_4)
	v_lshrrev_b16 v130, 11, v83
	v_lshrrev_b32_e32 v131, 19, v82
	s_delay_alu instid0(VALU_DEP_4) | instskip(NEXT) | instid1(VALU_DEP_4)
	v_mul_lo_u16 v83, v129, 12
	v_mul_u32_u24_e32 v81, 0xaaab, v81
	s_delay_alu instid0(VALU_DEP_4) | instskip(NEXT) | instid1(VALU_DEP_3)
	v_mul_lo_u16 v82, v130, 12
	v_sub_nc_u16 v83, v60, v83
	s_delay_alu instid0(VALU_DEP_3) | instskip(SKIP_1) | instid1(VALU_DEP_4)
	v_lshrrev_b32_e32 v132, 19, v81
	v_mul_lo_u16 v81, v131, 12
	v_sub_nc_u16 v82, v62, v82
	s_delay_alu instid0(VALU_DEP_4) | instskip(NEXT) | instid1(VALU_DEP_4)
	v_and_b32_e32 v133, 0xff, v83
	v_mul_lo_u16 v83, v132, 12
	s_delay_alu instid0(VALU_DEP_4) | instskip(NEXT) | instid1(VALU_DEP_4)
	v_sub_nc_u16 v81, v70, v81
	v_and_b32_e32 v134, 0xff, v82
	s_delay_alu instid0(VALU_DEP_4) | instskip(NEXT) | instid1(VALU_DEP_4)
	v_lshlrev_b32_e32 v85, 5, v133
	v_sub_nc_u16 v89, v69, v83
	s_delay_alu instid0(VALU_DEP_4) | instskip(NEXT) | instid1(VALU_DEP_4)
	v_and_b32_e32 v135, 0xffff, v81
	v_lshlrev_b32_e32 v93, 5, v134
	s_clause 0x1
	global_load_b128 v[81:84], v85, s[4:5] offset:160
	global_load_b128 v[85:88], v85, s[4:5] offset:176
	v_and_b32_e32 v136, 0xffff, v89
	v_lshlrev_b32_e32 v101, 5, v135
	s_clause 0x1
	global_load_b128 v[89:92], v93, s[4:5] offset:160
	global_load_b128 v[93:96], v93, s[4:5] offset:176
	v_lshlrev_b32_e32 v109, 5, v136
	s_clause 0x3
	global_load_b128 v[97:100], v101, s[4:5] offset:160
	global_load_b128 v[101:104], v101, s[4:5] offset:176
	;; [unrolled: 1-line block ×4, first 2 shown]
	global_wb scope:SCOPE_SE
	s_wait_loadcnt_dscnt 0x0
	s_barrier_signal -1
	s_barrier_wait -1
	global_inv scope:SCOPE_SE
	v_mul_f64_e32 v[113:114], v[30:31], v[83:84]
	v_mul_f64_e32 v[115:116], v[58:59], v[87:88]
	;; [unrolled: 1-line block ×16, first 2 shown]
	v_fma_f64 v[28:29], v[28:29], v[81:82], -v[113:114]
	v_fma_f64 v[56:57], v[56:57], v[85:86], -v[115:116]
	v_fma_f64 v[30:31], v[30:31], v[81:82], v[83:84]
	v_fma_f64 v[58:59], v[58:59], v[85:86], v[87:88]
	v_fma_f64 v[44:45], v[44:45], v[89:90], -v[117:118]
	v_fma_f64 v[52:53], v[52:53], v[93:94], -v[119:120]
	v_fma_f64 v[46:47], v[46:47], v[89:90], v[91:92]
	v_fma_f64 v[54:55], v[54:55], v[93:94], v[95:96]
	;; [unrolled: 4-line block ×4, first 2 shown]
	v_add_f64_e32 v[97:98], v[12:13], v[28:29]
	v_add_f64_e32 v[81:82], v[28:29], v[56:57]
	v_add_f64_e64 v[113:114], v[28:29], -v[56:57]
	v_add_f64_e32 v[83:84], v[30:31], v[58:59]
	v_add_f64_e64 v[99:100], v[30:31], -v[58:59]
	v_add_f64_e32 v[85:86], v[44:45], v[52:53]
	v_add_f64_e32 v[30:31], v[14:15], v[30:31]
	;; [unrolled: 1-line block ×11, first 2 shown]
	v_add_f64_e64 v[46:47], v[46:47], -v[54:55]
	v_add_f64_e64 v[44:45], v[44:45], -v[52:53]
	v_add_f64_e32 v[109:110], v[16:17], v[40:41]
	v_add_f64_e64 v[115:116], v[34:35], -v[38:39]
	v_add_f64_e64 v[117:118], v[32:33], -v[36:37]
	v_add_f64_e32 v[111:112], v[18:19], v[42:43]
	v_add_f64_e64 v[119:120], v[42:43], -v[50:51]
	v_add_f64_e64 v[121:122], v[40:41], -v[48:49]
	v_fma_f64 v[81:82], v[81:82], -0.5, v[12:13]
	v_sub_nc_u32_e32 v12, 0, v78
	v_fma_f64 v[83:84], v[83:84], -0.5, v[14:15]
	v_add_f64_e32 v[13:14], v[97:98], v[56:57]
	v_fma_f64 v[85:86], v[85:86], -0.5, v[24:25]
	v_and_b32_e32 v57, 0xffff, v129
	v_fma_f64 v[87:88], v[87:88], -0.5, v[26:27]
	v_mul_u32_u24_e32 v78, 0x240, v132
	v_fma_f64 v[89:90], v[89:90], -0.5, v[20:21]
	v_fma_f64 v[91:92], v[91:92], -0.5, v[22:23]
	v_add_f64_e32 v[21:22], v[105:106], v[36:37]
	v_fma_f64 v[93:94], v[93:94], -0.5, v[16:17]
	v_add_f64_e32 v[15:16], v[30:31], v[58:59]
	;; [unrolled: 2-line block ×3, first 2 shown]
	v_add_f64_e32 v[19:20], v[103:104], v[54:55]
	v_add_f64_e32 v[23:24], v[107:108], v[38:39]
	;; [unrolled: 1-line block ×3, first 2 shown]
	v_and_b32_e32 v58, 0xffff, v130
	v_add_f64_e32 v[27:28], v[111:112], v[50:51]
	v_mul_u32_u24_e32 v57, 0x240, v57
	v_mul_u32_u24_e32 v59, 0x240, v131
	s_delay_alu instid0(VALU_DEP_4)
	v_mul_u32_u24_e32 v58, 0x240, v58
	v_fma_f64 v[29:30], v[99:100], s[2:3], v[81:82]
	s_wait_alu 0xfffe
	v_fma_f64 v[33:34], v[99:100], s[6:7], v[81:82]
	v_fma_f64 v[31:32], v[113:114], s[6:7], v[83:84]
	;; [unrolled: 1-line block ×15, first 2 shown]
	v_lshlrev_b32_e32 v85, 4, v133
	v_lshlrev_b32_e32 v86, 4, v134
	v_lshlrev_b32_e32 v87, 4, v135
	v_lshlrev_b32_e32 v88, 4, v136
	s_delay_alu instid0(VALU_DEP_4) | instskip(NEXT) | instid1(VALU_DEP_4)
	v_add3_u32 v57, 0, v57, v85
	v_add3_u32 v58, 0, v58, v86
	s_delay_alu instid0(VALU_DEP_4) | instskip(NEXT) | instid1(VALU_DEP_4)
	v_add3_u32 v59, 0, v59, v87
	v_add3_u32 v78, 0, v78, v88
	ds_store_b128 v57, v[13:16]
	ds_store_b128 v57, v[29:32] offset:192
	ds_store_b128 v57, v[33:36] offset:384
	ds_store_b128 v58, v[17:20]
	ds_store_b128 v58, v[37:40] offset:192
	ds_store_b128 v58, v[41:44] offset:384
	;; [unrolled: 3-line block ×4, first 2 shown]
	s_and_saveexec_b32 s1, s0
	s_cbranch_execz .LBB0_21
; %bb.20:
	v_and_b32_e32 v13, 0xffff, v68
	s_delay_alu instid0(VALU_DEP_1) | instskip(NEXT) | instid1(VALU_DEP_1)
	v_mul_u32_u24_e32 v13, 0xaaab, v13
	v_lshrrev_b32_e32 v25, 19, v13
	s_delay_alu instid0(VALU_DEP_1) | instskip(NEXT) | instid1(VALU_DEP_1)
	v_mul_lo_u16 v13, v25, 12
	v_sub_nc_u16 v13, v68, v13
	s_delay_alu instid0(VALU_DEP_1) | instskip(NEXT) | instid1(VALU_DEP_1)
	v_and_b32_e32 v26, 0xffff, v13
	v_lshlrev_b32_e32 v17, 5, v26
	s_clause 0x1
	global_load_b128 v[13:16], v17, s[4:5] offset:160
	global_load_b128 v[17:20], v17, s[4:5] offset:176
	s_wait_loadcnt 0x1
	v_mul_f64_e32 v[21:22], v[4:5], v[15:16]
	s_wait_loadcnt 0x0
	v_mul_f64_e32 v[23:24], v[8:9], v[19:20]
	v_mul_f64_e32 v[15:16], v[6:7], v[15:16]
	;; [unrolled: 1-line block ×3, first 2 shown]
	s_delay_alu instid0(VALU_DEP_4) | instskip(NEXT) | instid1(VALU_DEP_4)
	v_fma_f64 v[6:7], v[6:7], v[13:14], v[21:22]
	v_fma_f64 v[10:11], v[10:11], v[17:18], v[23:24]
	s_delay_alu instid0(VALU_DEP_4) | instskip(NEXT) | instid1(VALU_DEP_4)
	v_fma_f64 v[4:5], v[4:5], v[13:14], -v[15:16]
	v_fma_f64 v[8:9], v[8:9], v[17:18], -v[19:20]
	s_delay_alu instid0(VALU_DEP_4) | instskip(NEXT) | instid1(VALU_DEP_4)
	v_add_f64_e32 v[19:20], v[2:3], v[6:7]
	v_add_f64_e32 v[13:14], v[6:7], v[10:11]
	v_add_f64_e64 v[21:22], v[6:7], -v[10:11]
	s_delay_alu instid0(VALU_DEP_4)
	v_add_f64_e32 v[15:16], v[4:5], v[8:9]
	v_add_f64_e64 v[17:18], v[4:5], -v[8:9]
	v_add_f64_e32 v[4:5], v[0:1], v[4:5]
	v_fma_f64 v[13:14], v[13:14], -0.5, v[2:3]
	v_add_f64_e32 v[2:3], v[19:20], v[10:11]
	v_fma_f64 v[15:16], v[15:16], -0.5, v[0:1]
	s_delay_alu instid0(VALU_DEP_4) | instskip(NEXT) | instid1(VALU_DEP_4)
	v_add_f64_e32 v[0:1], v[4:5], v[8:9]
	v_fma_f64 v[10:11], v[17:18], s[6:7], v[13:14]
	v_fma_f64 v[6:7], v[17:18], s[2:3], v[13:14]
	s_delay_alu instid0(VALU_DEP_4) | instskip(SKIP_3) | instid1(VALU_DEP_2)
	v_fma_f64 v[8:9], v[21:22], s[2:3], v[15:16]
	v_fma_f64 v[4:5], v[21:22], s[6:7], v[15:16]
	v_mul_lo_u16 v13, v25, 36
	v_lshlrev_b32_e32 v14, 4, v26
	v_and_b32_e32 v13, 0xffff, v13
	s_delay_alu instid0(VALU_DEP_1) | instskip(NEXT) | instid1(VALU_DEP_1)
	v_lshlrev_b32_e32 v13, 4, v13
	v_add3_u32 v13, 0, v14, v13
	ds_store_b128 v13, v[0:3]
	ds_store_b128 v13, v[8:11] offset:192
	ds_store_b128 v13, v[4:7] offset:384
.LBB0_21:
	s_wait_alu 0xfffe
	s_or_b32 exec_lo, exec_lo, s1
	v_mul_lo_u16 v0, v80, 57
	global_wb scope:SCOPE_SE
	s_wait_dscnt 0x0
	s_barrier_signal -1
	s_barrier_wait -1
	global_inv scope:SCOPE_SE
	v_lshrrev_b16 v2, 11, v0
	v_add_nc_u32_e32 v12, v71, v12
	s_mov_b32 s12, 0x37e14327
	s_mov_b32 s16, 0xe976ee23
	;; [unrolled: 1-line block ×3, first 2 shown]
	v_mul_lo_u16 v0, v2, 36
	v_and_b32_e32 v2, 0xffff, v2
	s_mov_b32 s2, 0x36b3c0b5
	s_mov_b32 s17, 0xbfe11646
	;; [unrolled: 1-line block ×3, first 2 shown]
	v_sub_nc_u16 v0, v60, v0
	v_mul_u32_u24_e32 v2, 0xfc0, v2
	s_mov_b32 s3, 0x3fac98ee
	s_mov_b32 s7, 0x3febfeb5
	s_mov_b32 s10, 0xaaaaaaaa
	v_and_b32_e32 v0, 0xff, v0
	s_mov_b32 s22, 0xb247c609
	s_mov_b32 s11, 0xbff2aaaa
	;; [unrolled: 1-line block ×4, first 2 shown]
	v_mul_u32_u24_e32 v1, 6, v0
	v_lshlrev_b32_e32 v0, 4, v0
	s_mov_b32 s15, 0x3fe77f67
	s_mov_b32 s19, 0xbfe77f67
	;; [unrolled: 1-line block ×3, first 2 shown]
	v_lshlrev_b32_e32 v41, 4, v1
	v_add3_u32 v0, 0, v2, v0
	v_mov_b32_e32 v2, 0
	v_mul_lo_u16 v1, v79, 57
	s_wait_alu 0xfffe
	s_mov_b32 s18, s14
	s_clause 0x2
	global_load_b128 v[4:7], v41, s[4:5] offset:544
	global_load_b128 v[8:11], v41, s[4:5] offset:560
	;; [unrolled: 1-line block ×3, first 2 shown]
	v_lshrrev_b16 v3, 11, v1
	s_mov_b32 s20, s22
	s_mov_b32 s24, 0x37c3f68c
	;; [unrolled: 1-line block ×3, first 2 shown]
	s_mov_b32 s1, exec_lo
	v_mul_lo_u16 v1, v3, 36
	v_and_b32_e32 v3, 0xffff, v3
	s_delay_alu instid0(VALU_DEP_2) | instskip(NEXT) | instid1(VALU_DEP_2)
	v_sub_nc_u16 v1, v62, v1
	v_mul_u32_u24_e32 v3, 0xfc0, v3
	s_delay_alu instid0(VALU_DEP_2) | instskip(NEXT) | instid1(VALU_DEP_1)
	v_and_b32_e32 v1, 0xff, v1
	v_mul_u32_u24_e32 v17, 6, v1
	v_lshlrev_b32_e32 v1, 4, v1
	s_delay_alu instid0(VALU_DEP_2)
	v_lshlrev_b32_e32 v49, 4, v17
	s_clause 0x8
	global_load_b128 v[17:20], v41, s[4:5] offset:608
	global_load_b128 v[21:24], v49, s[4:5] offset:544
	;; [unrolled: 1-line block ×9, first 2 shown]
	ds_load_b128 v[53:56], v76
	ds_load_b128 v[78:81], v74
	ds_load_b128 v[82:85], v72 offset:24192
	ds_load_b128 v[86:89], v77
	ds_load_b128 v[90:93], v72 offset:20160
	ds_load_b128 v[94:97], v72 offset:6048
	;; [unrolled: 1-line block ×6, first 2 shown]
	ds_load_b128 v[114:117], v72
	ds_load_b128 v[118:121], v12
	ds_load_b128 v[122:125], v72 offset:16128
	v_add3_u32 v1, 0, v3, v1
	s_wait_loadcnt_dscnt 0xb0c
	v_mul_f64_e32 v[57:58], v[55:56], v[6:7]
	v_mul_f64_e32 v[6:7], v[53:54], v[6:7]
	s_wait_loadcnt_dscnt 0xa0b
	v_mul_f64_e32 v[126:127], v[80:81], v[10:11]
	v_mul_f64_e32 v[10:11], v[78:79], v[10:11]
	;; [unrolled: 3-line block ×7, first 2 shown]
	v_fma_f64 v[53:54], v[53:54], v[4:5], -v[57:58]
	s_wait_loadcnt_dscnt 0x404
	v_mul_f64_e32 v[57:58], v[108:109], v[35:36]
	v_mul_f64_e32 v[35:36], v[106:107], v[35:36]
	v_fma_f64 v[55:56], v[55:56], v[4:5], v[6:7]
	ds_load_b128 v[4:7], v72 offset:18144
	v_fma_f64 v[78:79], v[78:79], v[8:9], -v[126:127]
	v_fma_f64 v[8:9], v[80:81], v[8:9], v[10:11]
	s_wait_loadcnt_dscnt 0x302
	v_mul_f64_e32 v[10:11], v[120:121], v[39:40]
	v_mul_f64_e32 v[39:40], v[118:119], v[39:40]
	s_wait_loadcnt_dscnt 0x201
	v_mul_f64_e32 v[80:81], v[124:125], v[43:44]
	v_fma_f64 v[82:83], v[82:83], v[13:14], -v[128:129]
	v_fma_f64 v[13:14], v[84:85], v[13:14], v[15:16]
	v_mul_f64_e32 v[15:16], v[122:123], v[43:44]
	global_wb scope:SCOPE_SE
	s_wait_loadcnt_dscnt 0x0
	s_barrier_signal -1
	s_barrier_wait -1
	global_inv scope:SCOPE_SE
	v_mul_f64_e32 v[84:85], v[6:7], v[51:52]
	v_fma_f64 v[43:44], v[90:91], v[17:18], -v[130:131]
	v_fma_f64 v[17:18], v[92:93], v[17:18], v[19:20]
	v_mul_f64_e32 v[19:20], v[112:113], v[47:48]
	v_mul_f64_e32 v[47:48], v[110:111], v[47:48]
	;; [unrolled: 1-line block ×3, first 2 shown]
	v_fma_f64 v[90:91], v[94:95], v[21:22], -v[132:133]
	v_fma_f64 v[21:22], v[96:97], v[21:22], v[23:24]
	v_fma_f64 v[23:24], v[98:99], v[25:26], -v[134:135]
	v_fma_f64 v[25:26], v[100:101], v[25:26], v[27:28]
	;; [unrolled: 2-line block ×5, first 2 shown]
	v_fma_f64 v[37:38], v[122:123], v[41:42], -v[80:81]
	v_add_f64_e32 v[39:40], v[53:54], v[82:83]
	v_fma_f64 v[15:16], v[124:125], v[41:42], v[15:16]
	v_add_f64_e32 v[41:42], v[55:56], v[13:14]
	v_add_f64_e64 v[13:14], v[55:56], -v[13:14]
	v_fma_f64 v[4:5], v[4:5], v[49:50], -v[84:85]
	v_add_f64_e32 v[57:58], v[78:79], v[43:44]
	v_add_f64_e32 v[80:81], v[8:9], v[17:18]
	v_fma_f64 v[19:20], v[110:111], v[45:46], -v[19:20]
	v_fma_f64 v[45:46], v[112:113], v[45:46], v[47:48]
	v_fma_f64 v[6:7], v[6:7], v[49:50], v[51:52]
	v_add_f64_e64 v[43:44], v[78:79], -v[43:44]
	v_add_f64_e64 v[8:9], v[8:9], -v[17:18]
	;; [unrolled: 1-line block ×3, first 2 shown]
	v_add_f64_e32 v[47:48], v[90:91], v[27:28]
	v_add_f64_e32 v[49:50], v[21:22], v[29:30]
	v_add_f64_e64 v[27:28], v[90:91], -v[27:28]
	v_add_f64_e64 v[21:22], v[21:22], -v[29:30]
	v_add_f64_e32 v[51:52], v[23:24], v[31:32]
	v_add_f64_e32 v[84:85], v[25:26], v[33:34]
	v_add_f64_e64 v[23:24], v[23:24], -v[31:32]
	v_add_f64_e64 v[25:26], v[25:26], -v[33:34]
	v_add_f64_e32 v[92:93], v[10:11], v[37:38]
	v_add_f64_e64 v[10:11], v[37:38], -v[10:11]
	v_add_f64_e32 v[94:95], v[35:36], v[15:16]
	;; [unrolled: 2-line block ×3, first 2 shown]
	v_add_f64_e32 v[37:38], v[80:81], v[41:42]
	v_add_f64_e32 v[31:32], v[19:20], v[4:5]
	v_add_f64_e64 v[19:20], v[4:5], -v[19:20]
	v_add_f64_e32 v[33:34], v[45:46], v[6:7]
	v_add_f64_e64 v[45:46], v[6:7], -v[45:46]
	v_add_f64_e64 v[98:99], v[8:9], -v[13:14]
	;; [unrolled: 1-line block ×3, first 2 shown]
	v_add_f64_e32 v[4:5], v[51:52], v[47:48]
	v_add_f64_e32 v[6:7], v[84:85], v[49:50]
	v_add_f64_e64 v[104:105], v[23:24], -v[27:28]
	v_add_f64_e64 v[106:107], v[25:26], -v[21:22]
	;; [unrolled: 1-line block ×10, first 2 shown]
	v_add_f64_e32 v[43:44], v[10:11], v[43:44]
	v_add_f64_e32 v[57:58], v[15:16], v[8:9]
	v_add_f64_e64 v[80:81], v[17:18], -v[10:11]
	v_add_f64_e64 v[15:16], v[13:14], -v[15:16]
	v_add_f64_e32 v[35:36], v[92:93], v[35:36]
	v_add_f64_e32 v[37:38], v[94:95], v[37:38]
	v_add_f64_e64 v[92:93], v[47:48], -v[31:32]
	v_add_f64_e64 v[100:101], v[19:20], -v[23:24]
	;; [unrolled: 1-line block ×4, first 2 shown]
	v_add_f64_e32 v[23:24], v[19:20], v[23:24]
	v_add_f64_e32 v[25:26], v[45:46], v[25:26]
	v_mul_f64_e32 v[120:121], s[6:7], v[96:97]
	v_mul_f64_e32 v[122:123], s[6:7], v[98:99]
	v_add_f64_e64 v[19:20], v[27:28], -v[19:20]
	v_add_f64_e64 v[45:46], v[21:22], -v[45:46]
	;; [unrolled: 1-line block ×4, first 2 shown]
	v_add_f64_e32 v[108:109], v[31:32], v[4:5]
	v_add_f64_e32 v[110:111], v[33:34], v[6:7]
	v_add_f64_e64 v[31:32], v[31:32], -v[51:52]
	v_add_f64_e64 v[33:34], v[33:34], -v[84:85]
	v_mul_f64_e32 v[29:30], s[12:13], v[29:30]
	v_mul_f64_e32 v[82:83], s[16:17], v[82:83]
	;; [unrolled: 1-line block ×6, first 2 shown]
	v_add_f64_e32 v[17:18], v[43:44], v[17:18]
	v_add_f64_e32 v[13:14], v[57:58], v[13:14]
	;; [unrolled: 1-line block ×4, first 2 shown]
	v_mul_f64_e32 v[92:93], s[12:13], v[92:93]
	v_mul_f64_e32 v[100:101], s[16:17], v[100:101]
	;; [unrolled: 1-line block ×6, first 2 shown]
	v_add_f64_e32 v[23:24], v[23:24], v[27:28]
	v_add_f64_e32 v[21:22], v[25:26], v[21:22]
	;; [unrolled: 1-line block ×4, first 2 shown]
	v_mul_f64_e32 v[51:52], s[2:3], v[31:32]
	v_mul_f64_e32 v[84:85], s[2:3], v[33:34]
	v_fma_f64 v[25:26], v[55:56], s[2:3], v[29:30]
	v_fma_f64 v[57:58], v[80:81], s[22:23], v[82:83]
	v_fma_f64 v[82:83], v[96:97], s[6:7], -v[82:83]
	v_fma_f64 v[27:28], v[78:79], s[2:3], v[53:54]
	v_fma_f64 v[78:79], v[15:16], s[22:23], v[90:91]
	v_fma_f64 v[86:87], v[98:99], s[6:7], -v[90:91]
	v_fma_f64 v[43:44], v[39:40], s[14:15], -v[112:113]
	s_wait_alu 0xfffe
	v_fma_f64 v[80:81], v[80:81], s[20:21], -v[120:121]
	v_fma_f64 v[15:16], v[15:16], s[20:21], -v[122:123]
	;; [unrolled: 1-line block ×5, first 2 shown]
	v_fma_f64 v[35:36], v[35:36], s[10:11], v[4:5]
	v_fma_f64 v[37:38], v[37:38], s[10:11], v[6:7]
	;; [unrolled: 1-line block ×6, first 2 shown]
	v_fma_f64 v[88:89], v[104:105], s[6:7], -v[100:101]
	v_fma_f64 v[90:91], v[106:107], s[6:7], -v[102:103]
	;; [unrolled: 1-line block ×6, first 2 shown]
	v_fma_f64 v[96:97], v[108:109], s[10:11], v[8:9]
	v_fma_f64 v[98:99], v[110:111], s[10:11], v[10:11]
	v_fma_f64 v[47:48], v[47:48], s[14:15], -v[51:52]
	v_fma_f64 v[49:50], v[49:50], s[14:15], -v[84:85]
	v_fma_f64 v[51:52], v[17:18], s[24:25], v[57:58]
	v_fma_f64 v[57:58], v[13:14], s[24:25], v[78:79]
	;; [unrolled: 1-line block ×6, first 2 shown]
	v_add_f64_e32 v[86:87], v[25:26], v[35:36]
	v_add_f64_e32 v[100:101], v[27:28], v[37:38]
	;; [unrolled: 1-line block ×6, first 2 shown]
	v_fma_f64 v[102:103], v[23:24], s[24:25], v[41:42]
	v_fma_f64 v[104:105], v[21:22], s[24:25], v[53:54]
	;; [unrolled: 1-line block ×6, first 2 shown]
	v_add_f64_e32 v[106:107], v[31:32], v[96:97]
	v_add_f64_e32 v[108:109], v[33:34], v[98:99]
	;; [unrolled: 1-line block ×7, first 2 shown]
	v_add_f64_e64 v[15:16], v[100:101], -v[51:52]
	v_add_f64_e32 v[17:18], v[84:85], v[29:30]
	v_add_f64_e64 v[19:20], v[39:40], -v[80:81]
	v_add_f64_e64 v[21:22], v[25:26], -v[82:83]
	v_add_f64_e32 v[23:24], v[78:79], v[27:28]
	v_add_f64_e32 v[25:26], v[82:83], v[25:26]
	v_add_f64_e64 v[27:28], v[27:28], -v[78:79]
	v_add_f64_e64 v[29:30], v[29:30], -v[84:85]
	v_add_f64_e32 v[31:32], v[80:81], v[39:40]
	v_add_f64_e64 v[33:34], v[86:87], -v[57:58]
	v_add_f64_e32 v[35:36], v[51:52], v[100:101]
	v_mul_u32_u24_e32 v57, 6, v60
	v_add_f64_e32 v[37:38], v[104:105], v[106:107]
	v_add_f64_e64 v[39:40], v[108:109], -v[102:103]
	v_add_f64_e32 v[41:42], v[90:91], v[92:93]
	v_add_f64_e64 v[43:44], v[94:95], -v[88:89]
	v_add_f64_e64 v[45:46], v[96:97], -v[55:56]
	v_add_f64_e32 v[47:48], v[53:54], v[98:99]
	v_add_f64_e32 v[49:50], v[55:56], v[96:97]
	v_add_f64_e64 v[51:52], v[98:99], -v[53:54]
	v_add_f64_e64 v[53:54], v[92:93], -v[90:91]
	v_add_f64_e32 v[55:56], v[88:89], v[94:95]
	v_add_f64_e64 v[78:79], v[106:107], -v[104:105]
	v_add_f64_e32 v[80:81], v[102:103], v[108:109]
	v_lshlrev_b32_e32 v57, 4, v57
	ds_store_b128 v0, v[4:7]
	ds_store_b128 v0, v[13:16] offset:576
	ds_store_b128 v0, v[17:20] offset:1152
	;; [unrolled: 1-line block ×6, first 2 shown]
	ds_store_b128 v1, v[8:11]
	ds_store_b128 v1, v[37:40] offset:576
	ds_store_b128 v1, v[41:44] offset:1152
	;; [unrolled: 1-line block ×6, first 2 shown]
	global_wb scope:SCOPE_SE
	s_wait_dscnt 0x0
	s_barrier_signal -1
	s_barrier_wait -1
	global_inv scope:SCOPE_SE
	s_clause 0x1
	global_load_b128 v[3:6], v57, s[4:5] offset:4000
	global_load_b128 v[7:10], v57, s[4:5] offset:4016
	v_mul_i32_i24_e32 v1, 6, v62
	s_delay_alu instid0(VALU_DEP_1) | instskip(NEXT) | instid1(VALU_DEP_1)
	v_lshlrev_b64_e32 v[0:1], 4, v[1:2]
	v_add_co_u32 v0, s0, s4, v0
	s_wait_alu 0xf1ff
	s_delay_alu instid0(VALU_DEP_2)
	v_add_co_ci_u32_e64 v1, s0, s5, v1, s0
	s_clause 0x9
	global_load_b128 v[13:16], v57, s[4:5] offset:4080
	global_load_b128 v[17:20], v57, s[4:5] offset:4064
	global_load_b128 v[21:24], v[0:1], off offset:4000
	global_load_b128 v[25:28], v[0:1], off offset:4016
	global_load_b128 v[29:32], v[0:1], off offset:4080
	global_load_b128 v[33:36], v[0:1], off offset:4064
	global_load_b128 v[37:40], v57, s[4:5] offset:4032
	global_load_b128 v[41:44], v57, s[4:5] offset:4048
	global_load_b128 v[45:48], v[0:1], off offset:4032
	global_load_b128 v[49:52], v[0:1], off offset:4048
	ds_load_b128 v[53:56], v76
	ds_load_b128 v[78:81], v74
	;; [unrolled: 1-line block ×3, first 2 shown]
	ds_load_b128 v[86:89], v72 offset:24192
	ds_load_b128 v[90:93], v72 offset:20160
	;; [unrolled: 1-line block ×6, first 2 shown]
	ds_load_b128 v[110:113], v12
	ds_load_b128 v[114:117], v72 offset:14112
	ds_load_b128 v[118:121], v72
	ds_load_b128 v[122:125], v72 offset:16128
	s_wait_loadcnt_dscnt 0xb0c
	v_mul_f64_e32 v[0:1], v[55:56], v[5:6]
	v_mul_f64_e32 v[5:6], v[53:54], v[5:6]
	s_wait_loadcnt_dscnt 0xa0b
	v_mul_f64_e32 v[57:58], v[80:81], v[9:10]
	v_mul_f64_e32 v[9:10], v[78:79], v[9:10]
	;; [unrolled: 3-line block ×7, first 2 shown]
	v_fma_f64 v[0:1], v[53:54], v[3:4], -v[0:1]
	v_fma_f64 v[53:54], v[55:56], v[3:4], v[5:6]
	s_wait_loadcnt_dscnt 0x404
	v_mul_f64_e32 v[55:56], v[108:109], v[35:36]
	v_mul_f64_e32 v[35:36], v[106:107], v[35:36]
	ds_load_b128 v[3:6], v72 offset:18144
	v_fma_f64 v[57:58], v[78:79], v[7:8], -v[57:58]
	v_fma_f64 v[7:8], v[80:81], v[7:8], v[9:10]
	s_wait_loadcnt_dscnt 0x304
	v_mul_f64_e32 v[9:10], v[112:113], v[39:40]
	v_mul_f64_e32 v[39:40], v[110:111], v[39:40]
	s_wait_loadcnt_dscnt 0x201
	v_mul_f64_e32 v[78:79], v[124:125], v[43:44]
	v_mul_f64_e32 v[43:44], v[122:123], v[43:44]
	v_fma_f64 v[80:81], v[86:87], v[13:14], -v[126:127]
	v_fma_f64 v[13:14], v[88:89], v[13:14], v[15:16]
	v_fma_f64 v[15:16], v[90:91], v[17:18], -v[128:129]
	v_fma_f64 v[17:18], v[92:93], v[17:18], v[19:20]
	s_wait_loadcnt 0x1
	v_mul_f64_e32 v[19:20], v[116:117], v[47:48]
	v_mul_f64_e32 v[47:48], v[114:115], v[47:48]
	v_fma_f64 v[88:89], v[94:95], v[21:22], -v[130:131]
	v_fma_f64 v[21:22], v[96:97], v[21:22], v[23:24]
	v_fma_f64 v[23:24], v[98:99], v[25:26], -v[132:133]
	v_fma_f64 v[25:26], v[100:101], v[25:26], v[27:28]
	;; [unrolled: 2-line block ×3, first 2 shown]
	global_wb scope:SCOPE_SE
	s_wait_loadcnt_dscnt 0x0
	v_mul_f64_e32 v[86:87], v[5:6], v[51:52]
	v_mul_f64_e32 v[51:52], v[3:4], v[51:52]
	s_barrier_signal -1
	s_barrier_wait -1
	global_inv scope:SCOPE_SE
	v_fma_f64 v[31:32], v[106:107], v[33:34], -v[55:56]
	v_fma_f64 v[33:34], v[108:109], v[33:34], v[35:36]
	v_fma_f64 v[9:10], v[110:111], v[37:38], -v[9:10]
	v_fma_f64 v[35:36], v[112:113], v[37:38], v[39:40]
	;; [unrolled: 2-line block ×3, first 2 shown]
	v_add_f64_e32 v[41:42], v[0:1], v[80:81]
	v_add_f64_e32 v[43:44], v[53:54], v[13:14]
	;; [unrolled: 1-line block ×4, first 2 shown]
	v_fma_f64 v[19:20], v[114:115], v[45:46], -v[19:20]
	v_fma_f64 v[45:46], v[116:117], v[45:46], v[47:48]
	v_add_f64_e64 v[15:16], v[57:58], -v[15:16]
	v_add_f64_e64 v[7:8], v[7:8], -v[17:18]
	;; [unrolled: 1-line block ×4, first 2 shown]
	v_add_f64_e32 v[47:48], v[88:89], v[27:28]
	v_add_f64_e64 v[27:28], v[88:89], -v[27:28]
	v_fma_f64 v[3:4], v[3:4], v[49:50], -v[86:87]
	v_fma_f64 v[5:6], v[5:6], v[49:50], v[51:52]
	v_add_f64_e32 v[49:50], v[21:22], v[29:30]
	v_add_f64_e64 v[21:22], v[21:22], -v[29:30]
	v_add_f64_e32 v[51:52], v[23:24], v[31:32]
	v_add_f64_e32 v[86:87], v[25:26], v[33:34]
	v_add_f64_e64 v[23:24], v[23:24], -v[31:32]
	v_add_f64_e64 v[25:26], v[25:26], -v[33:34]
	v_add_f64_e32 v[90:91], v[9:10], v[37:38]
	v_add_f64_e32 v[92:93], v[35:36], v[39:40]
	v_add_f64_e64 v[9:10], v[37:38], -v[9:10]
	;; [unrolled: 4-line block ×5, first 2 shown]
	v_add_f64_e64 v[104:105], v[25:26], -v[21:22]
	v_add_f64_e64 v[29:30], v[41:42], -v[90:91]
	;; [unrolled: 1-line block ×5, first 2 shown]
	v_add_f64_e32 v[35:36], v[90:91], v[35:36]
	v_add_f64_e32 v[37:38], v[92:93], v[37:38]
	v_add_f64_e64 v[53:54], v[90:91], -v[55:56]
	v_add_f64_e64 v[57:58], v[92:93], -v[78:79]
	;; [unrolled: 1-line block ×4, first 2 shown]
	v_add_f64_e32 v[15:16], v[9:10], v[15:16]
	v_add_f64_e32 v[55:56], v[17:18], v[7:8]
	v_add_f64_e64 v[78:79], v[0:1], -v[9:10]
	v_add_f64_e64 v[17:18], v[13:14], -v[17:18]
	v_mul_f64_e32 v[114:115], s[6:7], v[94:95]
	v_add_f64_e64 v[90:91], v[47:48], -v[31:32]
	v_add_f64_e64 v[92:93], v[49:50], -v[33:34]
	;; [unrolled: 1-line block ×4, first 2 shown]
	v_add_f64_e32 v[23:24], v[19:20], v[23:24]
	v_add_f64_e32 v[25:26], v[39:40], v[25:26]
	v_mul_f64_e32 v[116:117], s[6:7], v[96:97]
	v_add_f64_e64 v[19:20], v[27:28], -v[19:20]
	v_add_f64_e64 v[39:40], v[21:22], -v[39:40]
	v_add_f64_e64 v[47:48], v[51:52], -v[47:48]
	v_add_f64_e64 v[49:50], v[86:87], -v[49:50]
	v_add_f64_e32 v[106:107], v[31:32], v[3:4]
	v_add_f64_e32 v[108:109], v[33:34], v[5:6]
	v_add_f64_e64 v[31:32], v[31:32], -v[51:52]
	v_add_f64_e64 v[33:34], v[33:34], -v[86:87]
	v_mul_f64_e32 v[29:30], s[12:13], v[29:30]
	v_mul_f64_e32 v[45:46], s[12:13], v[45:46]
	v_mul_f64_e32 v[80:81], s[16:17], v[80:81]
	v_mul_f64_e32 v[88:89], s[16:17], v[88:89]
	v_add_f64_e32 v[3:4], v[118:119], v[35:36]
	v_add_f64_e32 v[5:6], v[120:121], v[37:38]
	v_mul_f64_e32 v[110:111], s[2:3], v[53:54]
	v_mul_f64_e32 v[112:113], s[2:3], v[57:58]
	v_mul_f64_e32 v[118:119], s[6:7], v[102:103]
	v_mul_f64_e32 v[120:121], s[6:7], v[104:105]
	v_add_f64_e32 v[0:1], v[15:16], v[0:1]
	v_add_f64_e32 v[13:14], v[55:56], v[13:14]
	;; [unrolled: 6-line block ×3, first 2 shown]
	v_add_f64_e32 v[7:8], v[82:83], v[106:107]
	v_add_f64_e32 v[9:10], v[84:85], v[108:109]
	v_mul_f64_e32 v[51:52], s[2:3], v[31:32]
	v_mul_f64_e32 v[82:83], s[2:3], v[33:34]
	v_fma_f64 v[23:24], v[53:54], s[2:3], v[29:30]
	v_fma_f64 v[25:26], v[57:58], s[2:3], v[45:46]
	;; [unrolled: 1-line block ×4, first 2 shown]
	v_fma_f64 v[80:81], v[94:95], s[6:7], -v[80:81]
	v_fma_f64 v[84:85], v[96:97], s[6:7], -v[88:89]
	v_fma_f64 v[35:36], v[35:36], s[10:11], v[3:4]
	v_fma_f64 v[37:38], v[37:38], s[10:11], v[5:6]
	v_fma_f64 v[27:28], v[41:42], s[14:15], -v[110:111]
	v_fma_f64 v[78:79], v[78:79], s[20:21], -v[114:115]
	;; [unrolled: 1-line block ×6, first 2 shown]
	v_fma_f64 v[31:32], v[31:32], s[2:3], v[90:91]
	v_fma_f64 v[33:34], v[33:34], s[2:3], v[92:93]
	;; [unrolled: 1-line block ×4, first 2 shown]
	v_fma_f64 v[86:87], v[102:103], s[6:7], -v[98:99]
	v_fma_f64 v[88:89], v[104:105], s[6:7], -v[100:101]
	;; [unrolled: 1-line block ×6, first 2 shown]
	v_fma_f64 v[94:95], v[106:107], s[10:11], v[7:8]
	v_fma_f64 v[96:97], v[108:109], s[10:11], v[9:10]
	v_fma_f64 v[47:48], v[47:48], s[14:15], -v[51:52]
	v_fma_f64 v[49:50], v[49:50], s[14:15], -v[82:83]
	v_fma_f64 v[51:52], v[0:1], s[24:25], v[55:56]
	v_fma_f64 v[55:56], v[13:14], s[24:25], v[57:58]
	;; [unrolled: 1-line block ×4, first 2 shown]
	v_add_f64_e32 v[82:83], v[23:24], v[35:36]
	v_add_f64_e32 v[84:85], v[25:26], v[37:38]
	;; [unrolled: 1-line block ×3, first 2 shown]
	v_fma_f64 v[0:1], v[0:1], s[24:25], v[78:79]
	v_fma_f64 v[78:79], v[13:14], s[24:25], v[17:18]
	v_add_f64_e32 v[29:30], v[29:30], v[35:36]
	v_add_f64_e32 v[41:42], v[41:42], v[37:38]
	;; [unrolled: 1-line block ×3, first 2 shown]
	v_fma_f64 v[98:99], v[15:16], s[24:25], v[43:44]
	v_fma_f64 v[100:101], v[21:22], s[24:25], v[45:46]
	v_fma_f64 v[53:54], v[15:16], s[24:25], v[86:87]
	v_fma_f64 v[86:87], v[21:22], s[24:25], v[88:89]
	v_fma_f64 v[88:89], v[15:16], s[24:25], v[19:20]
	v_fma_f64 v[102:103], v[21:22], s[24:25], v[39:40]
	v_add_f64_e32 v[104:105], v[31:32], v[94:95]
	v_add_f64_e32 v[106:107], v[33:34], v[96:97]
	;; [unrolled: 1-line block ×7, first 2 shown]
	v_add_f64_e64 v[15:16], v[84:85], -v[51:52]
	v_add_f64_e64 v[21:22], v[25:26], -v[80:81]
	v_add_f64_e32 v[25:26], v[80:81], v[25:26]
	v_add_f64_e64 v[33:34], v[82:83], -v[55:56]
	v_add_f64_e32 v[17:18], v[78:79], v[29:30]
	;; [unrolled: 2-line block ×3, first 2 shown]
	v_add_f64_e64 v[27:28], v[27:28], -v[57:58]
	v_add_f64_e64 v[29:30], v[29:30], -v[78:79]
	v_add_f64_e32 v[31:32], v[0:1], v[41:42]
	v_add_f64_e32 v[35:36], v[51:52], v[84:85]
                                        ; implicit-def: $vgpr0_vgpr1
	v_add_f64_e32 v[37:38], v[100:101], v[104:105]
	v_add_f64_e64 v[39:40], v[106:107], -v[98:99]
	v_add_f64_e32 v[41:42], v[102:103], v[90:91]
	v_add_f64_e64 v[43:44], v[92:93], -v[88:89]
	v_add_f64_e64 v[45:46], v[94:95], -v[86:87]
	v_add_f64_e32 v[47:48], v[53:54], v[96:97]
	v_add_f64_e32 v[49:50], v[86:87], v[94:95]
	v_add_f64_e64 v[51:52], v[96:97], -v[53:54]
	v_add_f64_e64 v[53:54], v[90:91], -v[102:103]
	v_add_f64_e32 v[55:56], v[88:89], v[92:93]
	v_add_f64_e64 v[78:79], v[104:105], -v[100:101]
	v_add_f64_e32 v[80:81], v[98:99], v[106:107]
	ds_store_b128 v72, v[3:6]
	ds_store_b128 v72, v[13:16] offset:4032
	ds_store_b128 v72, v[17:20] offset:8064
	;; [unrolled: 1-line block ×6, first 2 shown]
	ds_store_b128 v77, v[7:10]
	ds_store_b128 v77, v[37:40] offset:4032
	ds_store_b128 v77, v[41:44] offset:8064
	;; [unrolled: 1-line block ×6, first 2 shown]
	global_wb scope:SCOPE_SE
	s_wait_dscnt 0x0
	s_barrier_signal -1
	s_barrier_wait -1
	global_inv scope:SCOPE_SE
	ds_load_b128 v[4:7], v72
	v_sub_nc_u32_e32 v13, 0, v61
                                        ; implicit-def: $vgpr8_vgpr9
                                        ; implicit-def: $vgpr10_vgpr11
	v_cmpx_ne_u32_e32 0, v60
	s_xor_b32 s1, exec_lo, s1
	s_cbranch_execz .LBB0_23
; %bb.22:
	v_mov_b32_e32 v61, v2
	s_delay_alu instid0(VALU_DEP_1) | instskip(NEXT) | instid1(VALU_DEP_1)
	v_lshlrev_b64_e32 v[0:1], 4, v[60:61]
	v_add_co_u32 v0, s0, s4, v0
	s_wait_alu 0xf1ff
	s_delay_alu instid0(VALU_DEP_2)
	v_add_co_ci_u32_e64 v1, s0, s5, v1, s0
	global_load_b128 v[14:17], v[0:1], off offset:28192
	ds_load_b128 v[0:3], v13 offset:28224
	s_wait_dscnt 0x0
	v_add_f64_e64 v[8:9], v[4:5], -v[0:1]
	v_add_f64_e32 v[10:11], v[6:7], v[2:3]
	v_add_f64_e64 v[2:3], v[6:7], -v[2:3]
	v_add_f64_e32 v[0:1], v[4:5], v[0:1]
	s_delay_alu instid0(VALU_DEP_4) | instskip(NEXT) | instid1(VALU_DEP_4)
	v_mul_f64_e32 v[6:7], 0.5, v[8:9]
	v_mul_f64_e32 v[4:5], 0.5, v[10:11]
	s_delay_alu instid0(VALU_DEP_4) | instskip(SKIP_1) | instid1(VALU_DEP_3)
	v_mul_f64_e32 v[2:3], 0.5, v[2:3]
	s_wait_loadcnt 0x0
	v_mul_f64_e32 v[8:9], v[6:7], v[16:17]
	s_delay_alu instid0(VALU_DEP_2) | instskip(SKIP_1) | instid1(VALU_DEP_3)
	v_fma_f64 v[10:11], v[4:5], v[16:17], v[2:3]
	v_fma_f64 v[2:3], v[4:5], v[16:17], -v[2:3]
	v_fma_f64 v[18:19], v[0:1], 0.5, v[8:9]
	v_fma_f64 v[0:1], v[0:1], 0.5, -v[8:9]
	s_delay_alu instid0(VALU_DEP_4) | instskip(NEXT) | instid1(VALU_DEP_4)
	v_fma_f64 v[10:11], -v[14:15], v[6:7], v[10:11]
	v_fma_f64 v[2:3], -v[14:15], v[6:7], v[2:3]
	s_delay_alu instid0(VALU_DEP_4) | instskip(NEXT) | instid1(VALU_DEP_4)
	v_fma_f64 v[8:9], v[4:5], v[14:15], v[18:19]
	v_fma_f64 v[0:1], -v[4:5], v[14:15], v[0:1]
                                        ; implicit-def: $vgpr4_vgpr5
.LBB0_23:
	s_wait_alu 0xfffe
	s_or_saveexec_b32 s0, s1
	v_sub_nc_u32_e32 v14, 0, v63
	s_wait_alu 0xfffe
	s_xor_b32 exec_lo, exec_lo, s0
	s_cbranch_execz .LBB0_25
; %bb.24:
	s_wait_dscnt 0x0
	v_add_f64_e32 v[8:9], v[4:5], v[6:7]
	v_add_f64_e64 v[0:1], v[4:5], -v[6:7]
	v_mov_b32_e32 v6, 0
	v_mov_b32_e32 v10, 0
	;; [unrolled: 1-line block ×3, first 2 shown]
	s_delay_alu instid0(VALU_DEP_2)
	v_mov_b32_e32 v2, v10
	ds_load_b64 v[4:5], v6 offset:14120
	v_mov_b32_e32 v3, v11
	s_wait_dscnt 0x0
	v_xor_b32_e32 v5, 0x80000000, v5
	ds_store_b64 v6, v[4:5] offset:14120
.LBB0_25:
	s_or_b32 exec_lo, exec_lo, s0
	v_mov_b32_e32 v63, 0
	s_wait_dscnt 0x0
	s_delay_alu instid0(VALU_DEP_1) | instskip(SKIP_1) | instid1(VALU_DEP_1)
	v_lshlrev_b64_e32 v[4:5], 4, v[62:63]
	v_mov_b32_e32 v71, v63
	v_lshlrev_b64_e32 v[15:16], 4, v[70:71]
	v_mov_b32_e32 v70, v63
	s_delay_alu instid0(VALU_DEP_4) | instskip(SKIP_2) | instid1(VALU_DEP_4)
	v_add_co_u32 v4, s0, s4, v4
	s_wait_alu 0xf1ff
	v_add_co_ci_u32_e64 v5, s0, s5, v5, s0
	v_add_co_u32 v15, s0, s4, v15
	s_wait_alu 0xf1ff
	v_add_co_ci_u32_e64 v16, s0, s5, v16, s0
	s_clause 0x1
	global_load_b128 v[4:7], v[4:5], off offset:28192
	global_load_b128 v[15:18], v[15:16], off offset:28192
	ds_store_2addr_b64 v72, v[8:9], v[10:11] offset1:1
	ds_store_b128 v13, v[0:3] offset:28224
	ds_load_b128 v[0:3], v77
	ds_load_b128 v[8:11], v13 offset:26208
	s_wait_dscnt 0x0
	v_add_f64_e64 v[19:20], v[0:1], -v[8:9]
	v_add_f64_e32 v[21:22], v[2:3], v[10:11]
	v_add_f64_e64 v[2:3], v[2:3], -v[10:11]
	v_add_f64_e32 v[0:1], v[0:1], v[8:9]
	s_delay_alu instid0(VALU_DEP_4) | instskip(NEXT) | instid1(VALU_DEP_4)
	v_mul_f64_e32 v[10:11], 0.5, v[19:20]
	v_mul_f64_e32 v[19:20], 0.5, v[21:22]
	s_delay_alu instid0(VALU_DEP_4) | instskip(SKIP_1) | instid1(VALU_DEP_3)
	v_mul_f64_e32 v[2:3], 0.5, v[2:3]
	s_wait_loadcnt 0x1
	v_mul_f64_e32 v[8:9], v[10:11], v[6:7]
	s_delay_alu instid0(VALU_DEP_2) | instskip(SKIP_1) | instid1(VALU_DEP_3)
	v_fma_f64 v[21:22], v[19:20], v[6:7], v[2:3]
	v_fma_f64 v[2:3], v[19:20], v[6:7], -v[2:3]
	v_fma_f64 v[6:7], v[0:1], 0.5, v[8:9]
	v_fma_f64 v[0:1], v[0:1], 0.5, -v[8:9]
	s_delay_alu instid0(VALU_DEP_4) | instskip(NEXT) | instid1(VALU_DEP_4)
	v_fma_f64 v[8:9], -v[4:5], v[10:11], v[21:22]
	v_fma_f64 v[10:11], -v[4:5], v[10:11], v[2:3]
	s_delay_alu instid0(VALU_DEP_4) | instskip(NEXT) | instid1(VALU_DEP_4)
	v_fma_f64 v[6:7], v[19:20], v[4:5], v[6:7]
	v_fma_f64 v[4:5], -v[19:20], v[4:5], v[0:1]
	v_lshlrev_b64_e32 v[0:1], 4, v[69:70]
	v_mov_b32_e32 v69, v63
	s_delay_alu instid0(VALU_DEP_2) | instskip(SKIP_1) | instid1(VALU_DEP_3)
	v_add_co_u32 v0, s0, s4, v0
	s_wait_alu 0xf1ff
	v_add_co_ci_u32_e64 v1, s0, s5, v1, s0
	global_load_b128 v[0:3], v[0:1], off offset:28192
	ds_store_b64 v77, v[8:9] offset:8
	ds_store_b64 v13, v[10:11] offset:26216
	ds_store_b64 v77, v[6:7]
	ds_store_b64 v13, v[4:5] offset:26208
	ds_load_b128 v[4:7], v76
	ds_load_b128 v[8:11], v13 offset:24192
	s_wait_dscnt 0x0
	v_add_f64_e64 v[19:20], v[4:5], -v[8:9]
	v_add_f64_e32 v[21:22], v[6:7], v[10:11]
	v_add_f64_e64 v[6:7], v[6:7], -v[10:11]
	v_add_f64_e32 v[4:5], v[4:5], v[8:9]
	s_delay_alu instid0(VALU_DEP_4) | instskip(NEXT) | instid1(VALU_DEP_4)
	v_mul_f64_e32 v[10:11], 0.5, v[19:20]
	v_mul_f64_e32 v[19:20], 0.5, v[21:22]
	s_delay_alu instid0(VALU_DEP_4) | instskip(SKIP_1) | instid1(VALU_DEP_3)
	v_mul_f64_e32 v[6:7], 0.5, v[6:7]
	s_wait_loadcnt 0x1
	v_mul_f64_e32 v[8:9], v[10:11], v[17:18]
	s_delay_alu instid0(VALU_DEP_2) | instskip(SKIP_1) | instid1(VALU_DEP_3)
	v_fma_f64 v[21:22], v[19:20], v[17:18], v[6:7]
	v_fma_f64 v[6:7], v[19:20], v[17:18], -v[6:7]
	v_fma_f64 v[17:18], v[4:5], 0.5, v[8:9]
	v_fma_f64 v[4:5], v[4:5], 0.5, -v[8:9]
	s_delay_alu instid0(VALU_DEP_4) | instskip(NEXT) | instid1(VALU_DEP_4)
	v_fma_f64 v[8:9], -v[15:16], v[10:11], v[21:22]
	v_fma_f64 v[10:11], -v[15:16], v[10:11], v[6:7]
	s_delay_alu instid0(VALU_DEP_4) | instskip(NEXT) | instid1(VALU_DEP_4)
	v_fma_f64 v[17:18], v[19:20], v[15:16], v[17:18]
	v_fma_f64 v[15:16], -v[19:20], v[15:16], v[4:5]
	v_lshlrev_b64_e32 v[4:5], 4, v[68:69]
	v_mov_b32_e32 v68, v63
	s_delay_alu instid0(VALU_DEP_2) | instskip(SKIP_1) | instid1(VALU_DEP_3)
	v_add_co_u32 v4, s0, s4, v4
	s_wait_alu 0xf1ff
	v_add_co_ci_u32_e64 v5, s0, s5, v5, s0
	global_load_b128 v[4:7], v[4:5], off offset:28192
	ds_store_b64 v76, v[8:9] offset:8
	ds_store_b64 v13, v[10:11] offset:24200
	ds_store_b64 v76, v[17:18]
	ds_store_b64 v13, v[15:16] offset:24192
	ds_load_b128 v[8:11], v75
	ds_load_b128 v[15:18], v13 offset:22176
	s_wait_dscnt 0x0
	v_add_f64_e64 v[19:20], v[8:9], -v[15:16]
	v_add_f64_e32 v[21:22], v[10:11], v[17:18]
	v_add_f64_e64 v[10:11], v[10:11], -v[17:18]
	v_add_f64_e32 v[8:9], v[8:9], v[15:16]
	s_delay_alu instid0(VALU_DEP_4) | instskip(NEXT) | instid1(VALU_DEP_4)
	v_mul_f64_e32 v[17:18], 0.5, v[19:20]
	v_mul_f64_e32 v[19:20], 0.5, v[21:22]
	s_delay_alu instid0(VALU_DEP_4) | instskip(SKIP_1) | instid1(VALU_DEP_3)
	v_mul_f64_e32 v[10:11], 0.5, v[10:11]
	s_wait_loadcnt 0x1
	v_mul_f64_e32 v[15:16], v[17:18], v[2:3]
	s_delay_alu instid0(VALU_DEP_2) | instskip(SKIP_1) | instid1(VALU_DEP_3)
	v_fma_f64 v[21:22], v[19:20], v[2:3], v[10:11]
	v_fma_f64 v[2:3], v[19:20], v[2:3], -v[10:11]
	v_fma_f64 v[10:11], v[8:9], 0.5, v[15:16]
	v_fma_f64 v[8:9], v[8:9], 0.5, -v[15:16]
	s_delay_alu instid0(VALU_DEP_4) | instskip(NEXT) | instid1(VALU_DEP_4)
	v_fma_f64 v[15:16], -v[0:1], v[17:18], v[21:22]
	v_fma_f64 v[17:18], -v[0:1], v[17:18], v[2:3]
	s_delay_alu instid0(VALU_DEP_4) | instskip(NEXT) | instid1(VALU_DEP_4)
	v_fma_f64 v[10:11], v[19:20], v[0:1], v[10:11]
	v_fma_f64 v[8:9], -v[19:20], v[0:1], v[8:9]
	v_lshlrev_b64_e32 v[0:1], 4, v[67:68]
	s_delay_alu instid0(VALU_DEP_1) | instskip(SKIP_1) | instid1(VALU_DEP_2)
	v_add_co_u32 v0, s0, s4, v0
	s_wait_alu 0xf1ff
	v_add_co_ci_u32_e64 v1, s0, s5, v1, s0
	global_load_b128 v[0:3], v[0:1], off offset:28192
	ds_store_b64 v75, v[15:16] offset:8
	ds_store_b64 v13, v[17:18] offset:22184
	ds_store_b64 v75, v[10:11]
	ds_store_b64 v13, v[8:9] offset:22176
	ds_load_b128 v[8:11], v74
	ds_load_b128 v[15:18], v13 offset:20160
	s_wait_dscnt 0x0
	v_add_f64_e64 v[19:20], v[8:9], -v[15:16]
	v_add_f64_e32 v[21:22], v[10:11], v[17:18]
	v_add_f64_e64 v[10:11], v[10:11], -v[17:18]
	v_add_f64_e32 v[8:9], v[8:9], v[15:16]
	s_delay_alu instid0(VALU_DEP_4) | instskip(NEXT) | instid1(VALU_DEP_4)
	v_mul_f64_e32 v[17:18], 0.5, v[19:20]
	v_mul_f64_e32 v[19:20], 0.5, v[21:22]
	s_delay_alu instid0(VALU_DEP_4) | instskip(SKIP_1) | instid1(VALU_DEP_3)
	v_mul_f64_e32 v[10:11], 0.5, v[10:11]
	s_wait_loadcnt 0x1
	v_mul_f64_e32 v[15:16], v[17:18], v[6:7]
	s_delay_alu instid0(VALU_DEP_2) | instskip(SKIP_1) | instid1(VALU_DEP_3)
	v_fma_f64 v[21:22], v[19:20], v[6:7], v[10:11]
	v_fma_f64 v[6:7], v[19:20], v[6:7], -v[10:11]
	v_fma_f64 v[10:11], v[8:9], 0.5, v[15:16]
	v_fma_f64 v[8:9], v[8:9], 0.5, -v[15:16]
	s_delay_alu instid0(VALU_DEP_4) | instskip(NEXT) | instid1(VALU_DEP_4)
	v_fma_f64 v[15:16], -v[4:5], v[17:18], v[21:22]
	v_fma_f64 v[17:18], -v[4:5], v[17:18], v[6:7]
	v_dual_mov_b32 v67, v63 :: v_dual_add_nc_u32 v22, v73, v14
	v_fma_f64 v[10:11], v[19:20], v[4:5], v[10:11]
	v_fma_f64 v[8:9], -v[19:20], v[4:5], v[8:9]
	s_delay_alu instid0(VALU_DEP_3) | instskip(NEXT) | instid1(VALU_DEP_1)
	v_lshlrev_b64_e32 v[4:5], 4, v[66:67]
	v_add_co_u32 v4, s0, s4, v4
	s_wait_alu 0xf1ff
	s_delay_alu instid0(VALU_DEP_2)
	v_add_co_ci_u32_e64 v5, s0, s5, v5, s0
	global_load_b128 v[4:7], v[4:5], off offset:28192
	ds_store_b64 v74, v[15:16] offset:8
	ds_store_b64 v13, v[17:18] offset:20168
	ds_store_b64 v74, v[10:11]
	ds_store_b64 v13, v[8:9] offset:20160
	ds_load_b128 v[8:11], v22
	ds_load_b128 v[14:17], v13 offset:18144
	s_wait_dscnt 0x0
	v_add_f64_e64 v[18:19], v[8:9], -v[14:15]
	v_add_f64_e32 v[20:21], v[10:11], v[16:17]
	v_add_f64_e64 v[10:11], v[10:11], -v[16:17]
	v_add_f64_e32 v[8:9], v[8:9], v[14:15]
	s_delay_alu instid0(VALU_DEP_4) | instskip(NEXT) | instid1(VALU_DEP_4)
	v_mul_f64_e32 v[16:17], 0.5, v[18:19]
	v_mul_f64_e32 v[18:19], 0.5, v[20:21]
	s_delay_alu instid0(VALU_DEP_4) | instskip(SKIP_1) | instid1(VALU_DEP_3)
	v_mul_f64_e32 v[10:11], 0.5, v[10:11]
	s_wait_loadcnt 0x1
	v_mul_f64_e32 v[14:15], v[16:17], v[2:3]
	s_delay_alu instid0(VALU_DEP_2) | instskip(SKIP_1) | instid1(VALU_DEP_3)
	v_fma_f64 v[20:21], v[18:19], v[2:3], v[10:11]
	v_fma_f64 v[2:3], v[18:19], v[2:3], -v[10:11]
	v_fma_f64 v[10:11], v[8:9], 0.5, v[14:15]
	v_fma_f64 v[8:9], v[8:9], 0.5, -v[14:15]
	s_delay_alu instid0(VALU_DEP_4) | instskip(NEXT) | instid1(VALU_DEP_4)
	v_fma_f64 v[14:15], -v[0:1], v[16:17], v[20:21]
	v_fma_f64 v[2:3], -v[0:1], v[16:17], v[2:3]
	s_delay_alu instid0(VALU_DEP_4) | instskip(NEXT) | instid1(VALU_DEP_4)
	v_fma_f64 v[10:11], v[18:19], v[0:1], v[10:11]
	v_fma_f64 v[0:1], -v[18:19], v[0:1], v[8:9]
	ds_store_b64 v22, v[14:15] offset:8
	ds_store_b64 v13, v[2:3] offset:18152
	ds_store_b64 v22, v[10:11]
	ds_store_b64 v13, v[0:1] offset:18144
	ds_load_b128 v[0:3], v12
	ds_load_b128 v[8:11], v13 offset:16128
	s_wait_dscnt 0x0
	v_add_f64_e64 v[14:15], v[0:1], -v[8:9]
	v_add_f64_e32 v[16:17], v[2:3], v[10:11]
	v_add_f64_e64 v[2:3], v[2:3], -v[10:11]
	v_add_f64_e32 v[0:1], v[0:1], v[8:9]
	s_delay_alu instid0(VALU_DEP_4) | instskip(NEXT) | instid1(VALU_DEP_4)
	v_mul_f64_e32 v[10:11], 0.5, v[14:15]
	v_mul_f64_e32 v[14:15], 0.5, v[16:17]
	s_delay_alu instid0(VALU_DEP_4) | instskip(SKIP_1) | instid1(VALU_DEP_3)
	v_mul_f64_e32 v[2:3], 0.5, v[2:3]
	s_wait_loadcnt 0x0
	v_mul_f64_e32 v[8:9], v[10:11], v[6:7]
	s_delay_alu instid0(VALU_DEP_2) | instskip(SKIP_1) | instid1(VALU_DEP_3)
	v_fma_f64 v[16:17], v[14:15], v[6:7], v[2:3]
	v_fma_f64 v[2:3], v[14:15], v[6:7], -v[2:3]
	v_fma_f64 v[6:7], v[0:1], 0.5, v[8:9]
	v_fma_f64 v[0:1], v[0:1], 0.5, -v[8:9]
	s_delay_alu instid0(VALU_DEP_4) | instskip(NEXT) | instid1(VALU_DEP_4)
	v_fma_f64 v[8:9], -v[4:5], v[10:11], v[16:17]
	v_fma_f64 v[2:3], -v[4:5], v[10:11], v[2:3]
	s_delay_alu instid0(VALU_DEP_4) | instskip(NEXT) | instid1(VALU_DEP_4)
	v_fma_f64 v[6:7], v[14:15], v[4:5], v[6:7]
	v_fma_f64 v[0:1], -v[14:15], v[4:5], v[0:1]
	ds_store_b64 v12, v[8:9] offset:8
	ds_store_b64 v13, v[2:3] offset:16136
	ds_store_b64 v12, v[6:7]
	ds_store_b64 v13, v[0:1] offset:16128
	global_wb scope:SCOPE_SE
	s_wait_dscnt 0x0
	s_barrier_signal -1
	s_barrier_wait -1
	global_inv scope:SCOPE_SE
	s_and_saveexec_b32 s0, vcc_lo
	s_cbranch_execz .LBB0_28
; %bb.26:
	ds_load_b128 v[2:5], v72
	ds_load_b128 v[6:9], v72 offset:2016
	ds_load_b128 v[10:13], v72 offset:4032
	;; [unrolled: 1-line block ×13, first 2 shown]
	v_mov_b32_e32 v61, v63
	v_add_co_u32 v0, vcc_lo, s8, v64
	s_wait_alu 0xfffd
	v_add_co_ci_u32_e32 v1, vcc_lo, s9, v65, vcc_lo
	s_delay_alu instid0(VALU_DEP_3) | instskip(NEXT) | instid1(VALU_DEP_1)
	v_lshlrev_b64_e32 v[58:59], 4, v[60:61]
	v_add_co_u32 v58, vcc_lo, v0, v58
	s_wait_alu 0xfffd
	s_delay_alu instid0(VALU_DEP_2)
	v_add_co_ci_u32_e32 v59, vcc_lo, v1, v59, vcc_lo
	v_cmp_eq_u32_e32 vcc_lo, 0x7d, v60
	s_wait_dscnt 0xd
	global_store_b128 v[58:59], v[2:5], off
	s_wait_dscnt 0xc
	global_store_b128 v[58:59], v[6:9], off offset:2016
	s_wait_dscnt 0xb
	global_store_b128 v[58:59], v[10:13], off offset:4032
	;; [unrolled: 2-line block ×13, first 2 shown]
	s_and_b32 exec_lo, exec_lo, vcc_lo
	s_cbranch_execz .LBB0_28
; %bb.27:
	v_mov_b32_e32 v2, 0
	ds_load_b128 v[2:5], v2 offset:28224
	s_wait_dscnt 0x0
	global_store_b128 v[0:1], v[2:5], off offset:28224
.LBB0_28:
	s_nop 0
	s_sendmsg sendmsg(MSG_DEALLOC_VGPRS)
	s_endpgm
	.section	.rodata,"a",@progbits
	.p2align	6, 0x0
	.amdhsa_kernel fft_rtc_fwd_len1764_factors_2_2_3_3_7_7_wgs_126_tpt_126_halfLds_dp_ip_CI_unitstride_sbrr_R2C_dirReg
		.amdhsa_group_segment_fixed_size 0
		.amdhsa_private_segment_fixed_size 0
		.amdhsa_kernarg_size 88
		.amdhsa_user_sgpr_count 2
		.amdhsa_user_sgpr_dispatch_ptr 0
		.amdhsa_user_sgpr_queue_ptr 0
		.amdhsa_user_sgpr_kernarg_segment_ptr 1
		.amdhsa_user_sgpr_dispatch_id 0
		.amdhsa_user_sgpr_private_segment_size 0
		.amdhsa_wavefront_size32 1
		.amdhsa_uses_dynamic_stack 0
		.amdhsa_enable_private_segment 0
		.amdhsa_system_sgpr_workgroup_id_x 1
		.amdhsa_system_sgpr_workgroup_id_y 0
		.amdhsa_system_sgpr_workgroup_id_z 0
		.amdhsa_system_sgpr_workgroup_info 0
		.amdhsa_system_vgpr_workitem_id 0
		.amdhsa_next_free_vgpr 138
		.amdhsa_next_free_sgpr 32
		.amdhsa_reserve_vcc 1
		.amdhsa_float_round_mode_32 0
		.amdhsa_float_round_mode_16_64 0
		.amdhsa_float_denorm_mode_32 3
		.amdhsa_float_denorm_mode_16_64 3
		.amdhsa_fp16_overflow 0
		.amdhsa_workgroup_processor_mode 1
		.amdhsa_memory_ordered 1
		.amdhsa_forward_progress 0
		.amdhsa_round_robin_scheduling 0
		.amdhsa_exception_fp_ieee_invalid_op 0
		.amdhsa_exception_fp_denorm_src 0
		.amdhsa_exception_fp_ieee_div_zero 0
		.amdhsa_exception_fp_ieee_overflow 0
		.amdhsa_exception_fp_ieee_underflow 0
		.amdhsa_exception_fp_ieee_inexact 0
		.amdhsa_exception_int_div_zero 0
	.end_amdhsa_kernel
	.text
.Lfunc_end0:
	.size	fft_rtc_fwd_len1764_factors_2_2_3_3_7_7_wgs_126_tpt_126_halfLds_dp_ip_CI_unitstride_sbrr_R2C_dirReg, .Lfunc_end0-fft_rtc_fwd_len1764_factors_2_2_3_3_7_7_wgs_126_tpt_126_halfLds_dp_ip_CI_unitstride_sbrr_R2C_dirReg
                                        ; -- End function
	.section	.AMDGPU.csdata,"",@progbits
; Kernel info:
; codeLenInByte = 12492
; NumSgprs: 34
; NumVgprs: 138
; ScratchSize: 0
; MemoryBound: 0
; FloatMode: 240
; IeeeMode: 1
; LDSByteSize: 0 bytes/workgroup (compile time only)
; SGPRBlocks: 4
; VGPRBlocks: 17
; NumSGPRsForWavesPerEU: 34
; NumVGPRsForWavesPerEU: 138
; Occupancy: 10
; WaveLimiterHint : 1
; COMPUTE_PGM_RSRC2:SCRATCH_EN: 0
; COMPUTE_PGM_RSRC2:USER_SGPR: 2
; COMPUTE_PGM_RSRC2:TRAP_HANDLER: 0
; COMPUTE_PGM_RSRC2:TGID_X_EN: 1
; COMPUTE_PGM_RSRC2:TGID_Y_EN: 0
; COMPUTE_PGM_RSRC2:TGID_Z_EN: 0
; COMPUTE_PGM_RSRC2:TIDIG_COMP_CNT: 0
	.text
	.p2alignl 7, 3214868480
	.fill 96, 4, 3214868480
	.type	__hip_cuid_13d43fa3db47a476,@object ; @__hip_cuid_13d43fa3db47a476
	.section	.bss,"aw",@nobits
	.globl	__hip_cuid_13d43fa3db47a476
__hip_cuid_13d43fa3db47a476:
	.byte	0                               ; 0x0
	.size	__hip_cuid_13d43fa3db47a476, 1

	.ident	"AMD clang version 19.0.0git (https://github.com/RadeonOpenCompute/llvm-project roc-6.4.0 25133 c7fe45cf4b819c5991fe208aaa96edf142730f1d)"
	.section	".note.GNU-stack","",@progbits
	.addrsig
	.addrsig_sym __hip_cuid_13d43fa3db47a476
	.amdgpu_metadata
---
amdhsa.kernels:
  - .args:
      - .actual_access:  read_only
        .address_space:  global
        .offset:         0
        .size:           8
        .value_kind:     global_buffer
      - .offset:         8
        .size:           8
        .value_kind:     by_value
      - .actual_access:  read_only
        .address_space:  global
        .offset:         16
        .size:           8
        .value_kind:     global_buffer
      - .actual_access:  read_only
        .address_space:  global
        .offset:         24
        .size:           8
        .value_kind:     global_buffer
      - .offset:         32
        .size:           8
        .value_kind:     by_value
      - .actual_access:  read_only
        .address_space:  global
        .offset:         40
        .size:           8
        .value_kind:     global_buffer
      - .actual_access:  read_only
        .address_space:  global
        .offset:         48
        .size:           8
        .value_kind:     global_buffer
      - .offset:         56
        .size:           4
        .value_kind:     by_value
      - .actual_access:  read_only
        .address_space:  global
        .offset:         64
        .size:           8
        .value_kind:     global_buffer
      - .actual_access:  read_only
        .address_space:  global
        .offset:         72
        .size:           8
        .value_kind:     global_buffer
      - .address_space:  global
        .offset:         80
        .size:           8
        .value_kind:     global_buffer
    .group_segment_fixed_size: 0
    .kernarg_segment_align: 8
    .kernarg_segment_size: 88
    .language:       OpenCL C
    .language_version:
      - 2
      - 0
    .max_flat_workgroup_size: 126
    .name:           fft_rtc_fwd_len1764_factors_2_2_3_3_7_7_wgs_126_tpt_126_halfLds_dp_ip_CI_unitstride_sbrr_R2C_dirReg
    .private_segment_fixed_size: 0
    .sgpr_count:     34
    .sgpr_spill_count: 0
    .symbol:         fft_rtc_fwd_len1764_factors_2_2_3_3_7_7_wgs_126_tpt_126_halfLds_dp_ip_CI_unitstride_sbrr_R2C_dirReg.kd
    .uniform_work_group_size: 1
    .uses_dynamic_stack: false
    .vgpr_count:     138
    .vgpr_spill_count: 0
    .wavefront_size: 32
    .workgroup_processor_mode: 1
amdhsa.target:   amdgcn-amd-amdhsa--gfx1201
amdhsa.version:
  - 1
  - 2
...

	.end_amdgpu_metadata
